;; amdgpu-corpus repo=ROCm/rocFFT kind=compiled arch=gfx950 opt=O3
	.text
	.amdgcn_target "amdgcn-amd-amdhsa--gfx950"
	.amdhsa_code_object_version 6
	.protected	fft_rtc_back_len240_factors_4_5_3_4_wgs_240_tpt_20_dim3_sp_ip_CI_sbcc_twdbase8_3step_dirReg ; -- Begin function fft_rtc_back_len240_factors_4_5_3_4_wgs_240_tpt_20_dim3_sp_ip_CI_sbcc_twdbase8_3step_dirReg
	.globl	fft_rtc_back_len240_factors_4_5_3_4_wgs_240_tpt_20_dim3_sp_ip_CI_sbcc_twdbase8_3step_dirReg
	.p2align	8
	.type	fft_rtc_back_len240_factors_4_5_3_4_wgs_240_tpt_20_dim3_sp_ip_CI_sbcc_twdbase8_3step_dirReg,@function
fft_rtc_back_len240_factors_4_5_3_4_wgs_240_tpt_20_dim3_sp_ip_CI_sbcc_twdbase8_3step_dirReg: ; @fft_rtc_back_len240_factors_4_5_3_4_wgs_240_tpt_20_dim3_sp_ip_CI_sbcc_twdbase8_3step_dirReg
; %bb.0:
	s_load_dwordx4 s[4:7], s[0:1], 0x10
	s_mov_b32 s3, 0
	s_waitcnt lgkmcnt(0)
	s_load_dwordx2 s[14:15], s[4:5], 0x8
	s_waitcnt lgkmcnt(0)
	s_add_u32 s8, s14, -1
	s_addc_u32 s9, s15, -1
	s_add_u32 s10, 0, 0x55540000
	s_addc_u32 s11, 0, 0x55
	s_mul_hi_u32 s13, s10, -12
	s_add_i32 s11, s11, 0x15555500
	s_sub_i32 s13, s13, s10
	s_mul_i32 s18, s11, -12
	s_mul_i32 s12, s10, -12
	s_add_i32 s13, s13, s18
	s_mul_hi_u32 s16, s11, s12
	s_mul_i32 s17, s11, s12
	s_mul_i32 s19, s10, s13
	s_mul_hi_u32 s12, s10, s12
	s_mul_hi_u32 s18, s10, s13
	s_add_u32 s12, s12, s19
	s_addc_u32 s18, 0, s18
	s_add_u32 s12, s12, s17
	s_mul_hi_u32 s19, s11, s13
	s_addc_u32 s12, s18, s16
	s_addc_u32 s16, s19, 0
	s_mul_i32 s13, s11, s13
	s_add_u32 s12, s12, s13
	v_mov_b32_e32 v1, s12
	s_addc_u32 s13, 0, s16
	v_add_co_u32_e32 v1, vcc, s10, v1
	s_cmp_lg_u64 vcc, 0
	s_addc_u32 s10, s11, s13
	v_readfirstlane_b32 s13, v1
	s_mul_i32 s12, s8, s10
	s_mul_hi_u32 s16, s8, s13
	s_mul_hi_u32 s11, s8, s10
	s_add_u32 s12, s16, s12
	s_addc_u32 s11, 0, s11
	s_mul_hi_u32 s17, s9, s13
	s_mul_i32 s13, s9, s13
	s_add_u32 s12, s12, s13
	s_mul_hi_u32 s16, s9, s10
	s_addc_u32 s11, s11, s17
	s_addc_u32 s12, s16, 0
	s_mul_i32 s10, s9, s10
	s_add_u32 s10, s11, s10
	s_addc_u32 s11, 0, s12
	s_add_u32 s12, s10, 1
	s_addc_u32 s13, s11, 0
	s_add_u32 s16, s10, 2
	s_mul_i32 s18, s11, 12
	s_mul_hi_u32 s19, s10, 12
	s_addc_u32 s17, s11, 0
	s_add_i32 s19, s19, s18
	s_mul_i32 s18, s10, 12
	v_mov_b32_e32 v1, s18
	v_sub_co_u32_e32 v1, vcc, s8, v1
	s_cmp_lg_u64 vcc, 0
	s_subb_u32 s8, s9, s19
	v_subrev_co_u32_e32 v2, vcc, 12, v1
	s_cmp_lg_u64 vcc, 0
	s_subb_u32 s9, s8, 0
	v_readfirstlane_b32 s18, v2
	s_cmp_gt_u32 s18, 11
	s_cselect_b32 s18, -1, 0
	s_cmp_eq_u32 s9, 0
	s_cselect_b32 s9, s18, -1
	s_cmp_lg_u32 s9, 0
	s_cselect_b32 s9, s16, s12
	s_cselect_b32 s12, s17, s13
	v_readfirstlane_b32 s13, v1
	s_cmp_gt_u32 s13, 11
	s_cselect_b32 s13, -1, 0
	s_cmp_eq_u32 s8, 0
	s_cselect_b32 s8, s13, -1
	s_cmp_lg_u32 s8, 0
	s_cselect_b32 s9, s9, s10
	s_cselect_b32 s8, s12, s11
	s_add_u32 s12, s9, 1
	s_addc_u32 s13, s8, 0
	v_mov_b64_e32 v[2:3], s[12:13]
	v_cmp_lt_u64_e32 vcc, s[2:3], v[2:3]
	s_mov_b64 s[16:17], 0
	s_cbranch_vccnz .LBB0_2
; %bb.1:
	v_cvt_f32_u32_e32 v1, s12
	s_sub_i32 s8, 0, s12
	s_mov_b32 s17, s3
	v_rcp_iflag_f32_e32 v1, v1
	s_nop 0
	v_mul_f32_e32 v1, 0x4f7ffffe, v1
	v_cvt_u32_f32_e32 v1, v1
	s_nop 0
	v_readfirstlane_b32 s9, v1
	s_mul_i32 s8, s8, s9
	s_mul_hi_u32 s8, s9, s8
	s_add_i32 s9, s9, s8
	s_mul_hi_u32 s8, s2, s9
	s_mul_i32 s10, s8, s12
	s_sub_i32 s10, s2, s10
	s_add_i32 s9, s8, 1
	s_sub_i32 s11, s10, s12
	s_cmp_ge_u32 s10, s12
	s_cselect_b32 s8, s9, s8
	s_cselect_b32 s10, s11, s10
	s_add_i32 s9, s8, 1
	s_cmp_ge_u32 s10, s12
	s_cselect_b32 s16, s9, s8
.LBB0_2:
	s_load_dwordx2 s[20:21], s[4:5], 0x10
	s_load_dwordx2 s[10:11], s[6:7], 0x8
	s_mov_b64 s[18:19], s[16:17]
	s_waitcnt lgkmcnt(0)
	v_mov_b64_e32 v[2:3], s[20:21]
	v_cmp_lt_u64_e32 vcc, s[16:17], v[2:3]
	s_cbranch_vccnz .LBB0_4
; %bb.3:
	v_cvt_f32_u32_e32 v1, s20
	s_sub_i32 s4, 0, s20
	v_rcp_iflag_f32_e32 v1, v1
	s_nop 0
	v_mul_f32_e32 v1, 0x4f7ffffe, v1
	v_cvt_u32_f32_e32 v1, v1
	s_nop 0
	v_readfirstlane_b32 s5, v1
	s_mul_i32 s4, s4, s5
	s_mul_hi_u32 s4, s5, s4
	s_add_i32 s5, s5, s4
	s_mul_hi_u32 s4, s16, s5
	s_mul_i32 s4, s4, s20
	s_sub_i32 s4, s16, s4
	s_sub_i32 s5, s4, s20
	s_cmp_ge_u32 s4, s20
	s_cselect_b32 s4, s5, s4
	s_sub_i32 s5, s4, s20
	s_cmp_ge_u32 s4, s20
	s_cselect_b32 s18, s5, s4
.LBB0_4:
	s_mul_i32 s4, s20, s13
	s_mul_hi_u32 s5, s20, s12
	s_add_i32 s4, s5, s4
	s_mul_i32 s5, s21, s12
	s_load_dwordx2 s[8:9], s[0:1], 0x50
	s_add_i32 s25, s4, s5
	s_mul_i32 s24, s20, s12
	s_load_dwordx2 s[4:5], s[6:7], 0x0
	s_load_dwordx2 s[20:21], s[6:7], 0x10
	v_mov_b64_e32 v[2:3], s[24:25]
	v_cmp_lt_u64_e32 vcc, s[2:3], v[2:3]
	s_mov_b64 s[22:23], 0
	s_cbranch_vccnz .LBB0_6
; %bb.5:
	v_cvt_f32_u32_e32 v1, s24
	s_sub_i32 s3, 0, s24
	v_rcp_iflag_f32_e32 v1, v1
	s_nop 0
	v_mul_f32_e32 v1, 0x4f7ffffe, v1
	v_cvt_u32_f32_e32 v1, v1
	s_nop 0
	v_readfirstlane_b32 s17, v1
	s_mul_i32 s3, s3, s17
	s_mul_hi_u32 s3, s17, s3
	s_add_i32 s17, s17, s3
	s_mul_hi_u32 s3, s2, s17
	s_mul_i32 s19, s3, s24
	s_sub_i32 s19, s2, s19
	s_add_i32 s17, s3, 1
	s_sub_i32 s22, s19, s24
	s_cmp_ge_u32 s19, s24
	s_cselect_b32 s3, s17, s3
	s_cselect_b32 s19, s22, s19
	s_add_i32 s17, s3, 1
	s_cmp_ge_u32 s19, s24
	s_cselect_b32 s22, s17, s3
.LBB0_6:
	s_mul_i32 s3, s16, s13
	s_mul_hi_u32 s13, s16, s12
	s_add_i32 s13, s13, s3
	s_mul_i32 s3, s16, s12
	s_sub_u32 s12, s2, s3
	s_subb_u32 s2, 0, s13
	s_mul_i32 s13, s2, 12
	s_mul_hi_u32 s2, s12, 12
	s_add_i32 s16, s2, s13
	s_mul_i32 s17, s12, 12
	s_mul_i32 s2, s10, s16
	s_mul_hi_u32 s3, s10, s17
	s_add_i32 s2, s3, s2
	s_mul_i32 s3, s11, s17
	s_add_i32 s19, s2, s3
	s_load_dwordx2 s[2:3], s[6:7], 0x18
	s_waitcnt lgkmcnt(0)
	s_mul_i32 s21, s21, s18
	s_mul_hi_u32 s24, s20, s18
	s_mul_i32 s23, s10, s17
	s_add_i32 s24, s24, s21
	s_mul_i32 s6, s20, s18
	s_add_u32 s6, s6, s23
	s_mul_i32 s3, s3, s22
	s_mul_hi_u32 s18, s2, s22
	v_mul_u32_u24_e32 v1, 0x1556, v0
	s_addc_u32 s7, s24, s19
	s_add_i32 s18, s18, s3
	s_mul_i32 s2, s2, s22
	v_lshrrev_b32_e32 v47, 16, v1
	s_add_u32 s6, s2, s6
	v_mul_lo_u16_e32 v1, 12, v47
	s_addc_u32 s7, s18, s7
	v_sub_u16_e32 v34, v0, v1
	v_mov_b32_e32 v35, 0
	v_mad_u64_u32 v[36:37], s[2:3], s12, 12, v[34:35]
	s_add_u32 s12, s17, 12
	v_add_u32_e32 v37, s13, v37
	s_addc_u32 s13, s16, 0
	v_mov_b64_e32 v[2:3], s[14:15]
	v_cmp_gt_u64_e32 vcc, s[12:13], v[2:3]
	v_cmp_le_u64_e64 s[2:3], s[12:13], v[2:3]
	s_cbranch_vccz .LBB0_12
; %bb.7:
	v_cmp_le_u64_e32 vcc, s[14:15], v[36:37]
                                        ; implicit-def: $vgpr1
                                        ; implicit-def: $vgpr35
	s_and_saveexec_b64 s[12:13], vcc
	s_xor_b64 s[12:13], exec, s[12:13]
; %bb.8:
	v_add_u32_e32 v1, 20, v47
	v_add_u32_e32 v35, 40, v47
; %bb.9:
	s_or_saveexec_b64 s[12:13], s[12:13]
                                        ; implicit-def: $vgpr7
                                        ; implicit-def: $vgpr3
                                        ; implicit-def: $vgpr9
                                        ; implicit-def: $vgpr5
                                        ; implicit-def: $vgpr15
                                        ; implicit-def: $vgpr11
                                        ; implicit-def: $vgpr17
                                        ; implicit-def: $vgpr13
                                        ; implicit-def: $vgpr21
                                        ; implicit-def: $vgpr19
                                        ; implicit-def: $vgpr25
                                        ; implicit-def: $vgpr23
	s_xor_b64 exec, exec, s[12:13]
	s_cbranch_execz .LBB0_11
; %bb.10:
	v_mad_u64_u32 v[2:3], s[16:17], s10, v34, 0
	v_mov_b32_e32 v4, v3
	v_mad_u64_u32 v[4:5], s[16:17], s11, v34, v[4:5]
	v_mov_b32_e32 v3, v4
	;; [unrolled: 2-line block ×3, first 2 shown]
	v_mad_u64_u32 v[6:7], s[16:17], s5, v47, v[6:7]
	s_lshl_b64 s[16:17], s[6:7], 3
	s_add_u32 s16, s8, s16
	s_addc_u32 s17, s9, s17
	v_add_u32_e32 v1, 60, v47
	v_mov_b32_e32 v5, v6
	v_lshl_add_u64 v[18:19], v[2:3], 3, s[16:17]
	v_mad_u64_u32 v[2:3], s[16:17], s4, v1, 0
	v_lshl_add_u64 v[10:11], v[4:5], 3, v[18:19]
	v_mov_b32_e32 v4, v3
	v_mad_u64_u32 v[4:5], s[16:17], s5, v1, v[4:5]
	v_mov_b32_e32 v3, v4
	v_add_u32_e32 v1, 0x78, v47
	v_lshl_add_u64 v[12:13], v[2:3], 3, v[18:19]
	v_mad_u64_u32 v[2:3], s[16:17], s4, v1, 0
	v_mov_b32_e32 v4, v3
	v_mad_u64_u32 v[4:5], s[16:17], s5, v1, v[4:5]
	v_mov_b32_e32 v3, v4
	v_add_u32_e32 v1, 0xb4, v47
	v_lshl_add_u64 v[14:15], v[2:3], 3, v[18:19]
	v_mad_u64_u32 v[2:3], s[16:17], s4, v1, 0
	v_mov_b32_e32 v4, v3
	v_mad_u64_u32 v[4:5], s[16:17], s5, v1, v[4:5]
	v_mov_b32_e32 v3, v4
	v_add_u32_e32 v1, 20, v47
	v_lshl_add_u64 v[16:17], v[2:3], 3, v[18:19]
	global_load_dwordx2 v[4:5], v[10:11], off
	global_load_dwordx2 v[2:3], v[12:13], off
	;; [unrolled: 1-line block ×4, first 2 shown]
	v_mad_u64_u32 v[10:11], s[16:17], s4, v1, 0
	v_mov_b32_e32 v12, v11
	v_mad_u64_u32 v[12:13], s[16:17], s5, v1, v[12:13]
	v_mov_b32_e32 v11, v12
	v_add_u32_e32 v13, 0x50, v47
	v_lshl_add_u64 v[20:21], v[10:11], 3, v[18:19]
	v_mad_u64_u32 v[10:11], s[16:17], s4, v13, 0
	v_mov_b32_e32 v12, v11
	v_mad_u64_u32 v[12:13], s[16:17], s5, v13, v[12:13]
	v_mov_b32_e32 v11, v12
	v_add_u32_e32 v13, 0x8c, v47
	v_lshl_add_u64 v[22:23], v[10:11], 3, v[18:19]
	;; [unrolled: 6-line block ×4, first 2 shown]
	global_load_dwordx2 v[12:13], v[20:21], off
	global_load_dwordx2 v[10:11], v[22:23], off
	;; [unrolled: 1-line block ×4, first 2 shown]
	v_mad_u64_u32 v[20:21], s[16:17], s4, v35, 0
	v_mov_b32_e32 v22, v21
	v_mad_u64_u32 v[22:23], s[16:17], s5, v35, v[22:23]
	v_mov_b32_e32 v21, v22
	v_add_u32_e32 v23, 0x64, v47
	v_lshl_add_u64 v[26:27], v[20:21], 3, v[18:19]
	v_mad_u64_u32 v[20:21], s[16:17], s4, v23, 0
	v_mov_b32_e32 v22, v21
	v_mad_u64_u32 v[22:23], s[16:17], s5, v23, v[22:23]
	v_mov_b32_e32 v21, v22
	v_or_b32_e32 v23, 0xa0, v47
	v_lshl_add_u64 v[28:29], v[20:21], 3, v[18:19]
	v_mad_u64_u32 v[20:21], s[16:17], s4, v23, 0
	v_mov_b32_e32 v22, v21
	v_mad_u64_u32 v[22:23], s[16:17], s5, v23, v[22:23]
	v_mov_b32_e32 v21, v22
	v_add_u32_e32 v23, 0xdc, v47
	v_lshl_add_u64 v[30:31], v[20:21], 3, v[18:19]
	v_mad_u64_u32 v[20:21], s[16:17], s4, v23, 0
	v_mov_b32_e32 v22, v21
	v_mad_u64_u32 v[22:23], s[16:17], s5, v23, v[22:23]
	v_mov_b32_e32 v21, v22
	v_lshl_add_u64 v[32:33], v[20:21], 3, v[18:19]
	global_load_dwordx2 v[22:23], v[26:27], off
	global_load_dwordx2 v[18:19], v[28:29], off
	;; [unrolled: 1-line block ×4, first 2 shown]
.LBB0_11:
	s_or_b64 exec, exec, s[12:13]
	s_load_dwordx2 s[12:13], s[0:1], 0x0
	v_add_u32_e32 v48, 60, v47
	s_cbranch_execz .LBB0_13
	s_branch .LBB0_14
.LBB0_12:
                                        ; implicit-def: $vgpr7
                                        ; implicit-def: $vgpr3
                                        ; implicit-def: $vgpr9
                                        ; implicit-def: $vgpr5
                                        ; implicit-def: $vgpr15
                                        ; implicit-def: $vgpr11
                                        ; implicit-def: $vgpr17
                                        ; implicit-def: $vgpr13
                                        ; implicit-def: $vgpr21
                                        ; implicit-def: $vgpr19
                                        ; implicit-def: $vgpr25
                                        ; implicit-def: $vgpr23
                                        ; implicit-def: $vgpr1
                                        ; implicit-def: $vgpr35
	s_load_dwordx2 s[12:13], s[0:1], 0x0
	v_add_u32_e32 v48, 60, v47
.LBB0_13:
	s_waitcnt vmcnt(10)
	v_mad_u64_u32 v[2:3], s[16:17], s10, v34, 0
	v_mov_b32_e32 v4, v3
	v_mad_u64_u32 v[4:5], s[16:17], s11, v34, v[4:5]
	v_mov_b32_e32 v3, v4
	v_mad_u64_u32 v[4:5], s[16:17], s4, v47, 0
	s_waitcnt vmcnt(8)
	v_mov_b32_e32 v6, v5
	v_mad_u64_u32 v[6:7], s[16:17], s5, v47, v[6:7]
	s_lshl_b64 s[16:17], s[6:7], 3
	s_add_u32 s16, s8, s16
	s_addc_u32 s17, s9, s17
	v_mov_b32_e32 v5, v6
	s_waitcnt vmcnt(2)
	v_lshl_add_u64 v[18:19], v[2:3], 3, s[16:17]
	v_mad_u64_u32 v[2:3], s[16:17], s4, v48, 0
	v_lshl_add_u64 v[10:11], v[4:5], 3, v[18:19]
	v_mov_b32_e32 v4, v3
	v_mad_u64_u32 v[4:5], s[16:17], s5, v48, v[4:5]
	v_mov_b32_e32 v3, v4
	v_add_u32_e32 v1, 0x78, v47
	v_lshl_add_u64 v[12:13], v[2:3], 3, v[18:19]
	v_mad_u64_u32 v[2:3], s[16:17], s4, v1, 0
	v_mov_b32_e32 v4, v3
	v_mad_u64_u32 v[4:5], s[16:17], s5, v1, v[4:5]
	v_mov_b32_e32 v3, v4
	v_add_u32_e32 v1, 0xb4, v47
	v_lshl_add_u64 v[14:15], v[2:3], 3, v[18:19]
	v_mad_u64_u32 v[2:3], s[16:17], s4, v1, 0
	v_mov_b32_e32 v4, v3
	v_mad_u64_u32 v[4:5], s[16:17], s5, v1, v[4:5]
	v_mov_b32_e32 v3, v4
	v_add_u32_e32 v1, 20, v47
	v_lshl_add_u64 v[16:17], v[2:3], 3, v[18:19]
	global_load_dwordx2 v[4:5], v[10:11], off
	global_load_dwordx2 v[2:3], v[12:13], off
	;; [unrolled: 1-line block ×4, first 2 shown]
	v_mad_u64_u32 v[10:11], s[16:17], s4, v1, 0
	v_mov_b32_e32 v12, v11
	v_mad_u64_u32 v[12:13], s[16:17], s5, v1, v[12:13]
	v_mov_b32_e32 v11, v12
	v_add_u32_e32 v13, 0x50, v47
	s_waitcnt vmcnt(4)
	v_lshl_add_u64 v[20:21], v[10:11], 3, v[18:19]
	v_mad_u64_u32 v[10:11], s[16:17], s4, v13, 0
	v_mov_b32_e32 v12, v11
	v_mad_u64_u32 v[12:13], s[16:17], s5, v13, v[12:13]
	v_mov_b32_e32 v11, v12
	v_add_u32_e32 v13, 0x8c, v47
	v_lshl_add_u64 v[22:23], v[10:11], 3, v[18:19]
	v_mad_u64_u32 v[10:11], s[16:17], s4, v13, 0
	v_mov_b32_e32 v12, v11
	v_mad_u64_u32 v[12:13], s[16:17], s5, v13, v[12:13]
	v_mov_b32_e32 v11, v12
	v_add_u32_e32 v13, 0xc8, v47
	;; [unrolled: 6-line block ×3, first 2 shown]
	v_lshl_add_u64 v[26:27], v[10:11], 3, v[18:19]
	global_load_dwordx2 v[12:13], v[20:21], off
	global_load_dwordx2 v[10:11], v[22:23], off
	;; [unrolled: 1-line block ×4, first 2 shown]
	v_mad_u64_u32 v[20:21], s[16:17], s4, v35, 0
	v_mov_b32_e32 v22, v21
	v_mad_u64_u32 v[22:23], s[16:17], s5, v35, v[22:23]
	v_mov_b32_e32 v21, v22
	v_add_u32_e32 v23, 0x64, v47
	v_lshl_add_u64 v[26:27], v[20:21], 3, v[18:19]
	v_mad_u64_u32 v[20:21], s[16:17], s4, v23, 0
	v_mov_b32_e32 v22, v21
	v_mad_u64_u32 v[22:23], s[16:17], s5, v23, v[22:23]
	v_mov_b32_e32 v21, v22
	v_or_b32_e32 v23, 0xa0, v47
	v_lshl_add_u64 v[28:29], v[20:21], 3, v[18:19]
	v_mad_u64_u32 v[20:21], s[16:17], s4, v23, 0
	v_mov_b32_e32 v22, v21
	v_mad_u64_u32 v[22:23], s[16:17], s5, v23, v[22:23]
	v_mov_b32_e32 v21, v22
	v_add_u32_e32 v23, 0xdc, v47
	v_lshl_add_u64 v[30:31], v[20:21], 3, v[18:19]
	v_mad_u64_u32 v[20:21], s[16:17], s4, v23, 0
	v_mov_b32_e32 v22, v21
	v_mad_u64_u32 v[22:23], s[16:17], s5, v23, v[22:23]
	v_mov_b32_e32 v21, v22
	v_lshl_add_u64 v[32:33], v[20:21], 3, v[18:19]
	global_load_dwordx2 v[22:23], v[26:27], off
	global_load_dwordx2 v[18:19], v[28:29], off
	;; [unrolled: 1-line block ×4, first 2 shown]
.LBB0_14:
	s_waitcnt vmcnt(1)
	v_pk_add_f32 v[24:25], v[22:23], v[24:25] neg_lo:[0,1] neg_hi:[0,1]
	s_waitcnt vmcnt(0)
	v_pk_add_f32 v[20:21], v[18:19], v[20:21] neg_lo:[0,1] neg_hi:[0,1]
	v_pk_fma_f32 v[22:23], v[22:23], 2.0, v[24:25] op_sel_hi:[1,0,1] neg_lo:[0,0,1] neg_hi:[0,0,1]
	v_pk_fma_f32 v[18:19], v[18:19], 2.0, v[20:21] op_sel_hi:[1,0,1] neg_lo:[0,0,1] neg_hi:[0,0,1]
	v_pk_add_f32 v[8:9], v[4:5], v[8:9] neg_lo:[0,1] neg_hi:[0,1]
	v_pk_add_f32 v[38:39], v[22:23], v[18:19] neg_lo:[0,1] neg_hi:[0,1]
	v_mul_u32_u24_e32 v18, 48, v47
	v_pk_add_f32 v[6:7], v[2:3], v[6:7] neg_lo:[0,1] neg_hi:[0,1]
	v_lshlrev_b32_e32 v18, 3, v18
	v_lshlrev_b32_e32 v49, 3, v34
	v_add3_u32 v26, 0, v18, v49
	v_pk_fma_f32 v[4:5], v[4:5], 2.0, v[8:9] op_sel_hi:[1,0,1] neg_lo:[0,0,1] neg_hi:[0,0,1]
	v_pk_fma_f32 v[2:3], v[2:3], 2.0, v[6:7] op_sel_hi:[1,0,1] neg_lo:[0,0,1] neg_hi:[0,0,1]
	v_pk_add_f32 v[18:19], v[8:9], v[6:7] op_sel:[0,1] op_sel_hi:[1,0]
	v_pk_add_f32 v[6:7], v[8:9], v[6:7] op_sel:[0,1] op_sel_hi:[1,0] neg_lo:[0,1] neg_hi:[0,1]
	v_pk_add_f32 v[2:3], v[4:5], v[2:3] neg_lo:[0,1] neg_hi:[0,1]
	v_mov_b32_e32 v19, v7
	v_pk_fma_f32 v[4:5], v[4:5], 2.0, v[2:3] op_sel_hi:[1,0,1] neg_lo:[0,0,1] neg_hi:[0,0,1]
	v_pk_fma_f32 v[6:7], v[8:9], 2.0, v[18:19] op_sel_hi:[1,0,1] neg_lo:[0,0,1] neg_hi:[0,0,1]
	ds_write2_b64 v26, v[4:5], v[6:7] offset1:12
	ds_write2_b64 v26, v[2:3], v[18:19] offset0:24 offset1:36
	v_mul_i32_i24_e32 v2, 48, v1
	v_pk_add_f32 v[16:17], v[12:13], v[16:17] neg_lo:[0,1] neg_hi:[0,1]
	v_pk_add_f32 v[14:15], v[10:11], v[14:15] neg_lo:[0,1] neg_hi:[0,1]
	v_lshlrev_b32_e32 v2, 3, v2
	v_add3_u32 v42, 0, v2, v49
	v_pk_fma_f32 v[2:3], v[12:13], 2.0, v[16:17] op_sel_hi:[1,0,1] neg_lo:[0,0,1] neg_hi:[0,0,1]
	v_pk_fma_f32 v[4:5], v[10:11], 2.0, v[14:15] op_sel_hi:[1,0,1] neg_lo:[0,0,1] neg_hi:[0,0,1]
	v_pk_add_f32 v[6:7], v[16:17], v[14:15] op_sel:[0,1] op_sel_hi:[1,0]
	v_pk_add_f32 v[8:9], v[16:17], v[14:15] op_sel:[0,1] op_sel_hi:[1,0] neg_lo:[0,1] neg_hi:[0,1]
	v_pk_add_f32 v[4:5], v[2:3], v[4:5] neg_lo:[0,1] neg_hi:[0,1]
	v_mov_b32_e32 v7, v9
	v_pk_fma_f32 v[2:3], v[2:3], 2.0, v[4:5] op_sel_hi:[1,0,1] neg_lo:[0,0,1] neg_hi:[0,0,1]
	v_pk_fma_f32 v[8:9], v[16:17], 2.0, v[6:7] op_sel_hi:[1,0,1] neg_lo:[0,0,1] neg_hi:[0,0,1]
	ds_write2_b64 v42, v[2:3], v[8:9] offset1:12
	ds_write2_b64 v42, v[4:5], v[6:7] offset0:24 offset1:36
	v_mul_i32_i24_e32 v2, 48, v35
	v_lshl_add_u32 v4, v2, 3, 0
	v_pk_add_f32 v[40:41], v[24:25], v[20:21] op_sel:[0,1] op_sel_hi:[1,0]
	v_pk_add_f32 v[2:3], v[24:25], v[20:21] op_sel:[0,1] op_sel_hi:[1,0] neg_lo:[0,1] neg_hi:[0,1]
	v_add_u32_e32 v5, v4, v49
	v_mov_b32_e32 v41, v3
	v_pk_fma_f32 v[6:7], v[22:23], 2.0, v[38:39] op_sel_hi:[1,0,1] neg_lo:[0,0,1] neg_hi:[0,0,1]
	v_pk_fma_f32 v[8:9], v[24:25], 2.0, v[40:41] op_sel_hi:[1,0,1] neg_lo:[0,0,1] neg_hi:[0,0,1]
	s_movk_i32 s16, 0xfee0
	ds_write2_b64 v5, v[6:7], v[8:9] offset1:12
	ds_write2_b64 v5, v[38:39], v[40:41] offset0:24 offset1:36
	v_mad_i32_i24 v41, v47, s16, v26
	v_add_u32_e32 v2, 0x2400, v41
	s_waitcnt lgkmcnt(0)
	s_barrier
	ds_read2_b64 v[22:25], v2 offset1:240
	v_add_u32_e32 v2, 0x3600, v41
	ds_read2_b64 v[26:29], v2 offset1:240
	v_add_u32_e32 v2, 0x4800, v41
	v_mad_i32_i24 v46, v1, s16, v42
	ds_read2st64_b64 v[18:21], v41 offset1:9
	ds_read2_b64 v[30:33], v2 offset1:240
	ds_read_b64 v[42:43], v46
	ds_read_b64 v[44:45], v41 offset:6528
	s_movk_i32 s19, 0x60
	v_cmp_gt_u32_e32 vcc, s19, v0
                                        ; implicit-def: $vgpr8
	s_and_saveexec_b64 s[16:17], vcc
	s_cbranch_execz .LBB0_16
; %bb.15:
	v_mul_i32_i24_e32 v2, 0xfffffee0, v35
	v_add3_u32 v2, v4, v2, v49
	v_add_u32_e32 v6, 0x100, v41
	ds_read_b64 v[38:39], v2
	ds_read2st64_b64 v[2:5], v6 offset0:16 offset1:25
	ds_read2st64_b64 v[6:9], v6 offset0:34 offset1:43
	s_waitcnt lgkmcnt(1)
	v_mov_b32_e32 v40, v2
.LBB0_16:
	s_or_b64 exec, exec, s[16:17]
	v_and_b32_e32 v2, 3, v47
	v_lshlrev_b32_e32 v50, 5, v2
	global_load_dwordx4 v[14:17], v50, s[12:13]
	global_load_dwordx4 v[10:13], v50, s[12:13] offset:16
	v_lshrrev_b32_e32 v50, 2, v47
	v_lshrrev_b32_e32 v51, 2, v1
	v_mul_u32_u24_e32 v50, 20, v50
	v_mul_lo_u32 v51, v51, 20
	v_or_b32_e32 v50, v50, v2
	v_or_b32_e32 v51, v51, v2
	v_mul_u32_u24_e32 v50, 0x60, v50
	v_mul_lo_u32 v51, v51, s19
	v_add3_u32 v68, 0, v50, v49
	v_add3_u32 v69, 0, v51, v49
	s_mov_b32 s18, 0x3f737871
	s_mov_b32 s20, 0x3f167918
	;; [unrolled: 1-line block ×3, first 2 shown]
	s_waitcnt lgkmcnt(0)
	s_barrier
	s_waitcnt vmcnt(1)
	v_pk_mul_f32 v[52:53], v[16:17], v[22:23] op_sel:[0,1]
	s_waitcnt vmcnt(0)
	v_pk_mul_f32 v[54:55], v[10:11], v[26:27] op_sel:[0,1]
	v_pk_mul_f32 v[58:59], v[16:17], v[24:25] op_sel:[0,1]
	;; [unrolled: 1-line block ×7, first 2 shown]
	v_pk_fma_f32 v[66:67], v[16:17], v[22:23], v[52:53] op_sel:[0,0,1] op_sel_hi:[1,1,0]
	v_pk_fma_f32 v[22:23], v[16:17], v[22:23], v[52:53] op_sel:[0,0,1] op_sel_hi:[1,0,0] neg_lo:[1,0,0] neg_hi:[1,0,0]
	v_pk_fma_f32 v[52:53], v[16:17], v[24:25], v[58:59] op_sel:[0,0,1] op_sel_hi:[1,1,0]
	v_pk_fma_f32 v[24:25], v[16:17], v[24:25], v[58:59] op_sel:[0,0,1] op_sel_hi:[1,0,0] neg_lo:[1,0,0] neg_hi:[1,0,0]
	;; [unrolled: 2-line block ×8, first 2 shown]
	v_mov_b32_e32 v67, v23
	v_mov_b32_e32 v59, v27
	;; [unrolled: 1-line block ×4, first 2 shown]
	v_pk_add_f32 v[22:23], v[66:67], v[58:59]
	v_mov_b32_e32 v63, v45
	v_mov_b32_e32 v53, v25
	;; [unrolled: 1-line block ×4, first 2 shown]
	v_pk_add_f32 v[24:25], v[64:65], v[60:61] neg_lo:[0,1] neg_hi:[0,1]
	v_pk_add_f32 v[28:29], v[64:65], v[66:67] neg_lo:[0,1] neg_hi:[0,1]
	;; [unrolled: 1-line block ×3, first 2 shown]
	v_pk_add_f32 v[32:33], v[64:65], v[60:61]
	v_pk_add_f32 v[44:45], v[66:67], v[64:65] neg_lo:[0,1] neg_hi:[0,1]
	v_pk_add_f32 v[50:51], v[58:59], v[60:61] neg_lo:[0,1] neg_hi:[0,1]
	v_pk_fma_f32 v[22:23], v[22:23], 0.5, v[18:19] op_sel_hi:[1,0,1] neg_lo:[1,0,0] neg_hi:[1,0,0]
	v_pk_add_f32 v[20:21], v[18:19], v[64:65]
	v_pk_add_f32 v[26:27], v[66:67], v[58:59] neg_lo:[0,1] neg_hi:[0,1]
	v_pk_add_f32 v[28:29], v[28:29], v[30:31]
	v_pk_fma_f32 v[18:19], v[32:33], 0.5, v[18:19] op_sel_hi:[1,0,1] neg_lo:[1,0,0] neg_hi:[1,0,0]
	v_pk_add_f32 v[30:31], v[44:45], v[50:51]
	v_pk_fma_f32 v[44:45], v[24:25], s[18:19], v[22:23] op_sel:[1,0,0] op_sel_hi:[0,0,1] neg_lo:[1,0,0] neg_hi:[1,0,0]
	v_pk_fma_f32 v[22:23], v[24:25], s[18:19], v[22:23] op_sel:[1,0,0] op_sel_hi:[0,0,1]
	v_pk_add_f32 v[20:21], v[20:21], v[66:67]
	v_pk_fma_f32 v[50:51], v[26:27], s[18:19], v[18:19] op_sel:[1,0,0] op_sel_hi:[0,0,1]
	v_pk_fma_f32 v[18:19], v[26:27], s[18:19], v[18:19] op_sel:[1,0,0] op_sel_hi:[0,0,1] neg_lo:[1,0,0] neg_hi:[1,0,0]
	v_pk_fma_f32 v[22:23], v[26:27], s[20:21], v[22:23] op_sel:[1,0,0] op_sel_hi:[0,0,1]
	v_pk_fma_f32 v[26:27], v[26:27], s[20:21], v[44:45] op_sel:[1,0,0] op_sel_hi:[0,0,1] neg_lo:[1,0,0] neg_hi:[1,0,0]
	v_pk_add_f32 v[20:21], v[20:21], v[58:59]
	v_pk_fma_f32 v[18:19], v[24:25], s[20:21], v[18:19] op_sel:[1,0,0] op_sel_hi:[0,0,1]
	v_pk_fma_f32 v[24:25], v[24:25], s[20:21], v[50:51] op_sel:[1,0,0] op_sel_hi:[0,0,1] neg_lo:[1,0,0] neg_hi:[1,0,0]
	v_mov_b32_e32 v44, v26
	v_mov_b32_e32 v45, v23
	v_pk_add_f32 v[20:21], v[20:21], v[60:61]
	v_mov_b32_e32 v50, v24
	v_mov_b32_e32 v51, v19
	;; [unrolled: 1-line block ×4, first 2 shown]
	v_pk_fma_f32 v[24:25], v[28:29], s[16:17], v[44:45] op_sel_hi:[1,0,1]
	v_pk_fma_f32 v[26:27], v[30:31], s[16:17], v[50:51] op_sel_hi:[1,0,1]
	;; [unrolled: 1-line block ×4, first 2 shown]
	ds_write2_b64 v68, v[20:21], v[24:25] offset1:48
	ds_write2_b64 v68, v[26:27], v[18:19] offset0:96 offset1:144
	ds_write_b64 v68, v[22:23] offset:1536
	v_pk_add_f32 v[20:21], v[52:53], v[54:55]
	v_pk_add_f32 v[22:23], v[62:63], v[56:57] neg_lo:[0,1] neg_hi:[0,1]
	v_pk_fma_f32 v[20:21], v[20:21], 0.5, v[42:43] op_sel_hi:[1,0,1] neg_lo:[1,0,0] neg_hi:[1,0,0]
	v_pk_add_f32 v[26:27], v[62:63], v[52:53] neg_lo:[0,1] neg_hi:[0,1]
	v_pk_add_f32 v[28:29], v[56:57], v[54:55] neg_lo:[0,1] neg_hi:[0,1]
	v_pk_add_f32 v[64:65], v[42:43], v[62:63]
	v_pk_add_f32 v[24:25], v[52:53], v[54:55] neg_lo:[0,1] neg_hi:[0,1]
	v_pk_add_f32 v[26:27], v[26:27], v[28:29]
	v_pk_fma_f32 v[28:29], v[22:23], s[18:19], v[20:21] op_sel:[1,0,0] op_sel_hi:[0,0,1] neg_lo:[1,0,0] neg_hi:[1,0,0]
	v_pk_fma_f32 v[20:21], v[22:23], s[18:19], v[20:21] op_sel:[1,0,0] op_sel_hi:[0,0,1]
	v_pk_add_f32 v[32:33], v[64:65], v[52:53]
	v_pk_fma_f32 v[20:21], v[24:25], s[20:21], v[20:21] op_sel:[1,0,0] op_sel_hi:[0,0,1]
	v_pk_fma_f32 v[28:29], v[24:25], s[20:21], v[28:29] op_sel:[1,0,0] op_sel_hi:[0,0,1] neg_lo:[1,0,0] neg_hi:[1,0,0]
	v_pk_add_f32 v[32:33], v[32:33], v[54:55]
	v_mov_b32_e32 v30, v28
	v_mov_b32_e32 v31, v21
	v_pk_add_f32 v[18:19], v[32:33], v[56:57]
	v_pk_fma_f32 v[30:31], v[26:27], s[16:17], v[30:31] op_sel_hi:[1,0,1]
	ds_write2_b64 v69, v[18:19], v[30:31] offset1:48
	v_pk_add_f32 v[18:19], v[62:63], v[56:57]
	v_pk_add_f32 v[30:31], v[52:53], v[62:63] neg_lo:[0,1] neg_hi:[0,1]
	v_pk_fma_f32 v[18:19], v[18:19], 0.5, v[42:43] op_sel_hi:[1,0,1] neg_lo:[1,0,0] neg_hi:[1,0,0]
	v_pk_add_f32 v[32:33], v[54:55], v[56:57] neg_lo:[0,1] neg_hi:[0,1]
	v_mov_b32_e32 v21, v29
	v_pk_add_f32 v[30:31], v[30:31], v[32:33]
	v_pk_fma_f32 v[32:33], v[24:25], s[18:19], v[18:19] op_sel:[1,0,0] op_sel_hi:[0,0,1]
	v_pk_fma_f32 v[18:19], v[24:25], s[18:19], v[18:19] op_sel:[1,0,0] op_sel_hi:[0,0,1] neg_lo:[1,0,0] neg_hi:[1,0,0]
	v_pk_fma_f32 v[18:19], v[22:23], s[20:21], v[18:19] op_sel:[1,0,0] op_sel_hi:[0,0,1]
	v_pk_fma_f32 v[22:23], v[22:23], s[20:21], v[32:33] op_sel:[1,0,0] op_sel_hi:[0,0,1] neg_lo:[1,0,0] neg_hi:[1,0,0]
	v_mov_b32_e32 v24, v22
	v_mov_b32_e32 v25, v19
	;; [unrolled: 1-line block ×3, first 2 shown]
	v_pk_fma_f32 v[24:25], v[30:31], s[16:17], v[24:25] op_sel_hi:[1,0,1]
	v_pk_fma_f32 v[18:19], v[30:31], s[16:17], v[18:19] op_sel_hi:[1,0,1]
	ds_write2_b64 v69, v[24:25], v[18:19] offset0:96 offset1:144
	v_pk_fma_f32 v[18:19], v[26:27], s[16:17], v[20:21] op_sel_hi:[1,0,1]
	ds_write_b64 v69, v[18:19] offset:1536
	s_and_saveexec_b64 s[22:23], vcc
	s_cbranch_execz .LBB0_18
; %bb.17:
	v_mov_b32_e32 v24, v3
	v_lshrrev_b32_e32 v3, 2, v35
	v_mul_lo_u32 v3, v3, 20
	v_or_b32_e32 v2, v3, v2
	s_movk_i32 s17, 0x60
	v_mov_b32_e32 v22, v5
	v_pk_mul_f32 v[24:25], v[24:25], v[14:15] op_sel_hi:[0,1]
	v_mul_lo_u32 v2, v2, s17
	v_pk_mul_f32 v[22:23], v[22:23], v[16:17] op_sel_hi:[0,1]
	v_add3_u32 v26, 0, v2, v49
	v_pk_fma_f32 v[2:3], v[40:41], v[14:15], v[24:25] op_sel:[0,0,1] op_sel_hi:[1,1,0]
	v_pk_fma_f32 v[14:15], v[40:41], v[14:15], v[24:25] op_sel:[0,0,1] op_sel_hi:[0,1,0] neg_lo:[1,0,0] neg_hi:[1,0,0]
	v_mov_b32_e32 v20, v7
	v_mov_b32_e32 v3, v15
	v_pk_fma_f32 v[24:25], v[4:5], v[16:17], v[22:23] op_sel:[0,0,1] op_sel_hi:[1,1,0]
	v_pk_fma_f32 v[4:5], v[4:5], v[16:17], v[22:23] op_sel:[0,0,1] op_sel_hi:[0,1,0] neg_lo:[1,0,0] neg_hi:[1,0,0]
	v_mov_b32_e32 v18, v9
	v_pk_mul_f32 v[20:21], v[20:21], v[10:11] op_sel_hi:[0,1]
	v_pk_add_f32 v[14:15], v[38:39], v[2:3]
	v_mov_b32_e32 v25, v5
	v_pk_mul_f32 v[18:19], v[18:19], v[12:13] op_sel_hi:[0,1]
	v_pk_add_f32 v[4:5], v[14:15], v[24:25]
	v_pk_fma_f32 v[14:15], v[6:7], v[10:11], v[20:21] op_sel:[0,0,1] op_sel_hi:[1,1,0]
	v_pk_fma_f32 v[6:7], v[6:7], v[10:11], v[20:21] op_sel:[0,0,1] op_sel_hi:[0,1,0] neg_lo:[1,0,0] neg_hi:[1,0,0]
	v_mov_b32_e32 v15, v7
	v_pk_fma_f32 v[6:7], v[8:9], v[12:13], v[18:19] op_sel:[0,0,1] op_sel_hi:[1,1,0]
	v_pk_fma_f32 v[8:9], v[8:9], v[12:13], v[18:19] op_sel:[0,0,1] op_sel_hi:[0,1,0] neg_lo:[1,0,0] neg_hi:[1,0,0]
	v_mov_b32_e32 v7, v9
	v_pk_add_f32 v[10:11], v[2:3], v[6:7] neg_lo:[0,1] neg_hi:[0,1]
	v_pk_add_f32 v[12:13], v[24:25], v[14:15]
	v_pk_add_f32 v[8:9], v[24:25], v[14:15] neg_lo:[0,1] neg_hi:[0,1]
	v_pk_fma_f32 v[12:13], v[12:13], 0.5, v[38:39] op_sel_hi:[1,0,1] neg_lo:[1,0,0] neg_hi:[1,0,0]
	v_pk_mul_f32 v[16:17], v[10:11], s[18:19] op_sel_hi:[1,0]
	v_pk_add_f32 v[20:21], v[2:3], v[24:25] neg_lo:[0,1] neg_hi:[0,1]
	v_pk_add_f32 v[22:23], v[6:7], v[14:15] neg_lo:[0,1] neg_hi:[0,1]
	v_pk_mul_f32 v[18:19], v[8:9], s[20:21] op_sel_hi:[1,0]
	v_pk_add_f32 v[20:21], v[20:21], v[22:23]
	v_pk_add_f32 v[22:23], v[12:13], v[16:17] op_sel:[0,1] op_sel_hi:[1,0] neg_lo:[0,1] neg_hi:[0,1]
	v_pk_add_f32 v[12:13], v[12:13], v[16:17] op_sel:[0,1] op_sel_hi:[1,0]
	v_pk_add_f32 v[16:17], v[22:23], v[18:19] op_sel:[0,1] op_sel_hi:[1,0] neg_lo:[0,1] neg_hi:[0,1]
	v_pk_add_f32 v[12:13], v[12:13], v[18:19] op_sel:[0,1] op_sel_hi:[1,0]
	v_pk_add_f32 v[4:5], v[4:5], v[14:15]
	v_mov_b32_e32 v18, v16
	v_mov_b32_e32 v19, v13
	v_pk_add_f32 v[4:5], v[4:5], v[6:7]
	v_pk_fma_f32 v[18:19], v[20:21], s[16:17], v[18:19] op_sel_hi:[1,0,1]
	ds_write2_b64 v26, v[4:5], v[18:19] offset1:48
	v_pk_add_f32 v[4:5], v[24:25], v[2:3] neg_lo:[0,1] neg_hi:[0,1]
	v_pk_add_f32 v[2:3], v[2:3], v[6:7]
	v_pk_add_f32 v[14:15], v[14:15], v[6:7] neg_lo:[0,1] neg_hi:[0,1]
	v_pk_fma_f32 v[2:3], v[2:3], 0.5, v[38:39] op_sel_hi:[1,0,1] neg_lo:[1,0,0] neg_hi:[1,0,0]
	v_pk_mul_f32 v[6:7], v[8:9], s[18:19] op_sel_hi:[1,0]
	v_pk_mul_f32 v[8:9], v[10:11], s[20:21] op_sel_hi:[1,0]
	v_pk_add_f32 v[10:11], v[2:3], v[6:7] op_sel:[0,1] op_sel_hi:[1,0]
	v_pk_add_f32 v[2:3], v[2:3], v[6:7] op_sel:[0,1] op_sel_hi:[1,0] neg_lo:[0,1] neg_hi:[0,1]
	v_pk_add_f32 v[6:7], v[10:11], v[8:9] op_sel:[0,1] op_sel_hi:[1,0] neg_lo:[0,1] neg_hi:[0,1]
	v_pk_add_f32 v[2:3], v[2:3], v[8:9] op_sel:[0,1] op_sel_hi:[1,0]
	v_pk_add_f32 v[4:5], v[4:5], v[14:15]
	v_mov_b32_e32 v8, v6
	v_mov_b32_e32 v9, v3
	;; [unrolled: 1-line block ×3, first 2 shown]
	v_pk_fma_f32 v[8:9], v[4:5], s[16:17], v[8:9] op_sel_hi:[1,0,1]
	v_pk_fma_f32 v[2:3], v[4:5], s[16:17], v[2:3] op_sel_hi:[1,0,1]
	v_mov_b32_e32 v13, v17
	ds_write2_b64 v26, v[8:9], v[2:3] offset0:96 offset1:144
	v_pk_fma_f32 v[2:3], v[20:21], s[16:17], v[12:13] op_sel_hi:[1,0,1]
	ds_write_b64 v26, v[2:3] offset:1536
.LBB0_18:
	s_or_b64 exec, exec, s[22:23]
	s_movk_i32 s16, 0xcd
	v_mul_lo_u16_sdwa v2, v1, s16 dst_sel:DWORD dst_unused:UNUSED_PAD src0_sel:BYTE_0 src1_sel:DWORD
	v_mul_lo_u16_sdwa v3, v35, s16 dst_sel:DWORD dst_unused:UNUSED_PAD src0_sel:BYTE_0 src1_sel:DWORD
	v_lshrrev_b16_e32 v5, 12, v2
	v_lshrrev_b16_e32 v10, 12, v3
	v_mul_lo_u16_e32 v4, 0x67, v48
	v_mul_lo_u16_e32 v2, 20, v5
	;; [unrolled: 1-line block ×3, first 2 shown]
	v_lshrrev_b16_e32 v16, 11, v4
	v_sub_u16_e32 v3, v35, v3
	v_mul_lo_u16_e32 v4, 20, v16
	v_sub_u16_e32 v2, v1, v2
	v_and_b32_e32 v12, 0xff, v3
	v_sub_u16_e32 v4, v48, v4
	v_and_b32_e32 v40, 0xff, v2
	v_lshlrev_b32_e32 v3, 4, v12
	v_and_b32_e32 v29, 0xff, v4
	v_lshlrev_b32_e32 v2, 4, v40
	s_waitcnt lgkmcnt(0)
	s_barrier
	v_lshlrev_b32_e32 v4, 4, v29
	global_load_dwordx4 v[6:9], v3, s[12:13] offset:128
	global_load_dwordx4 v[18:21], v4, s[12:13] offset:128
	;; [unrolled: 1-line block ×3, first 2 shown]
	v_mul_lo_u16_e32 v2, 13, v47
	v_lshrrev_b16_e32 v62, 8, v2
	v_mul_lo_u16_e32 v2, 20, v62
	v_sub_u16_e32 v2, v47, v2
	v_and_b32_e32 v63, 0xff, v2
	v_lshlrev_b32_e32 v2, 4, v63
	global_load_dwordx4 v[30:33], v2, s[12:13] offset:128
	ds_read2st64_b64 v[42:45], v41 offset1:15
	v_add_u32_e32 v13, 0x3480, v41
	v_add_u32_e32 v4, 0x2580, v41
	;; [unrolled: 1-line block ×3, first 2 shown]
	ds_read_b64 v[2:3], v41 offset:21120
	ds_read2_b64 v[50:53], v13 offset1:240
	ds_read2_b64 v[54:57], v4 offset1:240
	;; [unrolled: 1-line block ×3, first 2 shown]
	v_mad_u32_u24 v10, v10, 60, v12
	v_mul_i32_i24_e32 v11, 0x60, v35
	v_mul_u32_u24_e32 v14, 0x60, v48
	v_mad_u32_u24 v48, v62, 60, v63
	v_mad_u32_u24 v16, v16, 60, v29
	v_mad_u32_u24 v5, v5, 60, v40
	v_mul_u32_u24_e32 v10, 0x60, v10
	v_add3_u32 v11, 0, v11, v49
	v_mul_u32_u24_e32 v29, 0x60, v48
	v_mul_u32_u24_e32 v12, 0x60, v16
	;; [unrolled: 1-line block ×3, first 2 shown]
	v_add3_u32 v40, 0, v10, v49
	v_add3_u32 v28, 0, v14, v49
	;; [unrolled: 1-line block ×5, first 2 shown]
	ds_read_b64 v[14:15], v28
	ds_read_b64 v[26:27], v11
	ds_read_b64 v[38:39], v46
	s_mov_b32 s16, 0x3f5db3d7
	s_waitcnt lgkmcnt(0)
	s_barrier
	v_cmp_gt_u64_e32 vcc, s[14:15], v[36:37]
	s_or_b64 s[2:3], s[2:3], vcc
	s_waitcnt vmcnt(3)
	v_pk_mul_f32 v[62:63], v[56:57], v[6:7] op_sel:[0,1]
	s_waitcnt vmcnt(2)
	v_mov_b32_e32 v10, v21
	v_pk_mul_f32 v[48:49], v[50:51], v[18:19] op_sel:[0,1]
	s_waitcnt vmcnt(1)
	v_pk_mul_f32 v[64:65], v[22:23], v[54:55] op_sel:[0,1]
	v_pk_mul_f32 v[66:67], v[2:3], v[10:11] op_sel_hi:[1,0]
	v_mov_b32_e32 v12, v9
	v_pk_fma_f32 v[68:69], v[2:3], v[20:21], v[66:67] op_sel:[0,0,1] op_sel_hi:[1,1,0]
	v_pk_fma_f32 v[2:3], v[2:3], v[20:21], v[66:67] op_sel:[0,0,1] op_sel_hi:[1,0,0] neg_lo:[0,0,1] neg_hi:[0,0,1]
	v_pk_fma_f32 v[20:21], v[50:51], v[18:19], v[48:49] op_sel:[0,0,1] op_sel_hi:[1,1,0]
	v_pk_fma_f32 v[18:19], v[50:51], v[18:19], v[48:49] op_sel:[0,0,1] op_sel_hi:[1,0,0] neg_lo:[0,0,1] neg_hi:[0,0,1]
	;; [unrolled: 2-line block ×3, first 2 shown]
	v_pk_mul_f32 v[54:55], v[24:25], v[58:59] op_sel:[0,1]
	v_pk_fma_f32 v[48:49], v[56:57], v[6:7], v[62:63] op_sel:[0,0,1] op_sel_hi:[1,1,0]
	v_pk_fma_f32 v[6:7], v[56:57], v[6:7], v[62:63] op_sel:[0,0,1] op_sel_hi:[1,0,0] neg_lo:[0,0,1] neg_hi:[0,0,1]
	v_pk_fma_f32 v[56:57], v[24:25], v[58:59], v[54:55] op_sel:[0,0,1] op_sel_hi:[1,1,0]
	v_pk_fma_f32 v[24:25], v[24:25], v[58:59], v[54:55] op_sel:[0,0,1] op_sel_hi:[1,0,0] neg_lo:[1,0,0] neg_hi:[1,0,0]
	s_waitcnt vmcnt(0)
	v_pk_mul_f32 v[54:55], v[30:31], v[44:45] op_sel:[0,1]
	v_mov_b32_e32 v51, v23
	v_mov_b32_e32 v57, v25
	v_pk_fma_f32 v[22:23], v[30:31], v[44:45], v[54:55] op_sel:[0,0,1] op_sel_hi:[1,1,0]
	v_pk_fma_f32 v[24:25], v[30:31], v[44:45], v[54:55] op_sel:[0,0,1] op_sel_hi:[1,0,0] neg_lo:[1,0,0] neg_hi:[1,0,0]
	v_pk_mul_f32 v[58:59], v[60:61], v[12:13] op_sel_hi:[1,0]
	v_mov_b32_e32 v23, v25
	v_pk_mul_f32 v[24:25], v[32:33], v[52:53] op_sel:[0,1]
	v_mov_b32_e32 v21, v19
	v_pk_fma_f32 v[30:31], v[32:33], v[52:53], v[24:25] op_sel:[0,0,1] op_sel_hi:[1,1,0]
	v_pk_fma_f32 v[24:25], v[32:33], v[52:53], v[24:25] op_sel:[0,0,1] op_sel_hi:[1,0,0] neg_lo:[1,0,0] neg_hi:[1,0,0]
	v_mov_b32_e32 v49, v7
	v_mov_b32_e32 v31, v25
	v_pk_add_f32 v[24:25], v[42:43], v[22:23]
	v_pk_add_f32 v[32:33], v[22:23], v[30:31]
	v_pk_add_f32 v[22:23], v[22:23], v[30:31] neg_lo:[0,1] neg_hi:[0,1]
	v_pk_fma_f32 v[32:33], v[32:33], 0.5, v[42:43] op_sel_hi:[1,0,1] neg_lo:[1,0,0] neg_hi:[1,0,0]
	v_pk_mul_f32 v[22:23], v[22:23], s[16:17] op_sel_hi:[1,0]
	v_pk_add_f32 v[24:25], v[24:25], v[30:31]
	v_pk_add_f32 v[30:31], v[32:33], v[22:23] op_sel:[0,1] op_sel_hi:[1,0] neg_lo:[0,1] neg_hi:[0,1]
	v_pk_add_f32 v[22:23], v[32:33], v[22:23] op_sel:[0,1] op_sel_hi:[1,0]
	v_mov_b32_e32 v32, v30
	v_mov_b32_e32 v33, v23
	;; [unrolled: 1-line block ×3, first 2 shown]
	ds_write2_b64 v16, v[24:25], v[32:33] offset1:240
	ds_write_b64 v16, v[22:23] offset:3840
	v_pk_add_f32 v[22:23], v[50:51], v[56:57]
	v_pk_add_f32 v[24:25], v[50:51], v[56:57] neg_lo:[0,1] neg_hi:[0,1]
	v_pk_fma_f32 v[22:23], v[22:23], 0.5, v[38:39] op_sel_hi:[1,0,1] neg_lo:[1,0,0] neg_hi:[1,0,0]
	v_pk_mul_f32 v[24:25], v[24:25], s[16:17] op_sel_hi:[1,0]
	v_pk_fma_f32 v[6:7], v[60:61], v[8:9], v[58:59] op_sel:[0,0,1] op_sel_hi:[1,1,0]
	v_pk_fma_f32 v[8:9], v[60:61], v[8:9], v[58:59] op_sel:[0,0,1] op_sel_hi:[1,0,0] neg_lo:[0,0,1] neg_hi:[0,0,1]
	v_pk_add_f32 v[18:19], v[38:39], v[50:51]
	v_pk_add_f32 v[30:31], v[22:23], v[24:25] op_sel:[0,1] op_sel_hi:[1,0] neg_lo:[0,1] neg_hi:[0,1]
	v_pk_add_f32 v[22:23], v[22:23], v[24:25] op_sel:[0,1] op_sel_hi:[1,0]
	v_mov_b32_e32 v7, v9
	v_pk_add_f32 v[8:9], v[26:27], v[48:49]
	v_pk_add_f32 v[18:19], v[18:19], v[56:57]
	v_mov_b32_e32 v24, v30
	v_mov_b32_e32 v25, v23
	v_pk_add_f32 v[8:9], v[8:9], v[6:7]
	ds_write2_b64 v5, v[18:19], v[24:25] offset1:240
	v_pk_add_f32 v[18:19], v[48:49], v[6:7]
	v_pk_add_f32 v[6:7], v[48:49], v[6:7] neg_lo:[0,1] neg_hi:[0,1]
	v_mov_b32_e32 v23, v31
	v_pk_fma_f32 v[18:19], v[18:19], 0.5, v[26:27] op_sel_hi:[1,0,1] neg_lo:[1,0,0] neg_hi:[1,0,0]
	v_pk_mul_f32 v[6:7], v[6:7], s[16:17] op_sel_hi:[1,0]
	ds_write_b64 v5, v[22:23] offset:3840
	v_pk_add_f32 v[22:23], v[18:19], v[6:7] op_sel:[0,1] op_sel_hi:[1,0] neg_lo:[0,1] neg_hi:[0,1]
	v_pk_add_f32 v[6:7], v[18:19], v[6:7] op_sel:[0,1] op_sel_hi:[1,0]
	v_mov_b32_e32 v69, v3
	v_mov_b32_e32 v18, v22
	;; [unrolled: 1-line block ×4, first 2 shown]
	ds_write2_b64 v40, v[8:9], v[18:19] offset1:240
	ds_write_b64 v40, v[6:7] offset:3840
	v_pk_add_f32 v[6:7], v[20:21], v[68:69]
	v_pk_add_f32 v[8:9], v[20:21], v[68:69] neg_lo:[0,1] neg_hi:[0,1]
	v_pk_fma_f32 v[6:7], v[6:7], 0.5, v[14:15] op_sel_hi:[1,0,1] neg_lo:[1,0,0] neg_hi:[1,0,0]
	v_pk_mul_f32 v[8:9], v[8:9], s[16:17] op_sel_hi:[1,0]
	v_pk_add_f32 v[2:3], v[14:15], v[20:21]
	v_pk_add_f32 v[14:15], v[6:7], v[8:9] op_sel:[0,1] op_sel_hi:[1,0] neg_lo:[0,1] neg_hi:[0,1]
	v_pk_add_f32 v[6:7], v[6:7], v[8:9] op_sel:[0,1] op_sel_hi:[1,0]
	v_pk_add_f32 v[2:3], v[2:3], v[68:69]
	v_mov_b32_e32 v8, v14
	v_mov_b32_e32 v9, v7
	;; [unrolled: 1-line block ×3, first 2 shown]
	ds_write2_b64 v29, v[2:3], v[8:9] offset1:240
	ds_write_b64 v29, v[6:7] offset:3840
	s_waitcnt lgkmcnt(0)
	s_barrier
	s_and_saveexec_b64 s[14:15], s[2:3]
	s_cbranch_execz .LBB0_20
; %bb.19:
	s_movk_i32 s2, 0x89
	v_mul_lo_u16_sdwa v2, v35, s2 dst_sel:DWORD dst_unused:UNUSED_PAD src0_sel:BYTE_0 src1_sel:DWORD
	v_lshrrev_b16_e32 v15, 13, v2
	v_mul_lo_u16_e32 v2, 60, v15
	s_load_dwordx2 s[0:1], s[0:1], 0x8
	v_sub_u16_e32 v2, v35, v2
	v_and_b32_e32 v25, 0xff, v2
	v_add_u32_e32 v2, 0xb4, v25
	v_mul_lo_u32 v2, v36, v2
	v_mov_b32_e32 v16, 3
	v_lshlrev_b32_sdwa v8, v16, v2 dst_sel:DWORD dst_unused:UNUSED_PAD src0_sel:DWORD src1_sel:BYTE_0
	v_bfe_u32 v5, v2, 16, 8
	v_lshlrev_b32_sdwa v9, v16, v2 dst_sel:DWORD dst_unused:UNUSED_PAD src0_sel:DWORD src1_sel:BYTE_1
	s_waitcnt lgkmcnt(0)
	global_load_dwordx2 v[2:3], v8, s[0:1]
	global_load_dwordx2 v[6:7], v9, s[0:1] offset:2048
	v_add_u32_e32 v8, 0x78, v25
	v_mul_lo_u32 v10, v36, v8
	v_mov_b32_e32 v24, 0x1000
	v_lshlrev_b32_sdwa v12, v16, v10 dst_sel:DWORD dst_unused:UNUSED_PAD src0_sel:DWORD src1_sel:BYTE_0
	v_lshlrev_b32_sdwa v14, v16, v10 dst_sel:DWORD dst_unused:UNUSED_PAD src0_sel:DWORD src1_sel:BYTE_1
	v_bfe_u32 v10, v10, 16, 8
	v_lshl_or_b32 v5, v5, 3, v24
	v_lshl_or_b32 v10, v10, 3, v24
	global_load_dwordx2 v[8:9], v12, s[0:1]
	global_load_dwordx2 v[18:19], v14, s[0:1] offset:2048
	global_load_dwordx2 v[20:21], v10, s[0:1]
	global_load_dwordx2 v[22:23], v5, s[0:1]
	v_add_u32_e32 v5, 60, v25
	v_mul_lo_u32 v5, v36, v5
	v_lshlrev_b32_sdwa v12, v16, v5 dst_sel:DWORD dst_unused:UNUSED_PAD src0_sel:DWORD src1_sel:BYTE_1
	v_lshlrev_b32_sdwa v10, v16, v5 dst_sel:DWORD dst_unused:UNUSED_PAD src0_sel:DWORD src1_sel:BYTE_0
	global_load_dwordx2 v[30:31], v12, s[0:1] offset:2048
	global_load_dwordx2 v[32:33], v10, s[0:1]
	v_mul_lo_u32 v10, v36, v25
	v_bfe_u32 v12, v10, 16, 8
	v_lshlrev_b32_sdwa v14, v16, v10 dst_sel:DWORD dst_unused:UNUSED_PAD src0_sel:DWORD src1_sel:BYTE_0
	v_lshlrev_b32_sdwa v10, v16, v10 dst_sel:DWORD dst_unused:UNUSED_PAD src0_sel:DWORD src1_sel:BYTE_1
	v_bfe_u32 v5, v5, 16, 8
	global_load_dwordx2 v[38:39], v14, s[0:1]
	global_load_dwordx2 v[42:43], v10, s[0:1] offset:2048
	v_lshl_or_b32 v10, v12, 3, v24
	s_movk_i32 s2, 0x1e0
	v_lshl_or_b32 v5, v5, 3, v24
	global_load_dwordx2 v[48:49], v10, s[0:1]
	global_load_dwordx2 v[50:51], v5, s[0:1]
	v_subrev_u32_e32 v10, 40, v47
	v_cmp_gt_u32_e32 vcc, s2, v0
	s_movk_i32 s2, 0x2d0
	s_nop 0
	v_cndmask_b32_e32 v14, v10, v1, vcc
	v_add_u32_e32 v10, 0xb4, v14
	v_mul_lo_u32 v10, v36, v10
	v_bfe_u32 v26, v10, 16, 8
	v_lshl_or_b32 v26, v26, 3, v24
	v_add_u32_e32 v5, 0x78, v14
	v_lshlrev_b32_sdwa v27, v16, v10 dst_sel:DWORD dst_unused:UNUSED_PAD src0_sel:DWORD src1_sel:BYTE_0
	v_lshlrev_b32_sdwa v10, v16, v10 dst_sel:DWORD dst_unused:UNUSED_PAD src0_sel:DWORD src1_sel:BYTE_1
	global_load_dwordx2 v[52:53], v26, s[0:1]
	global_load_dwordx2 v[54:55], v27, s[0:1]
	global_load_dwordx2 v[56:57], v10, s[0:1] offset:2048
	v_mul_lo_u32 v5, v36, v5
	v_add_u32_e32 v12, 60, v14
	v_bfe_u32 v26, v5, 16, 8
	v_lshlrev_b32_sdwa v27, v16, v5 dst_sel:DWORD dst_unused:UNUSED_PAD src0_sel:DWORD src1_sel:BYTE_0
	v_mul_lo_u32 v10, v36, v14
	v_mul_lo_u32 v12, v36, v12
	v_lshlrev_b32_sdwa v5, v16, v5 dst_sel:DWORD dst_unused:UNUSED_PAD src0_sel:DWORD src1_sel:BYTE_1
	global_load_dwordx2 v[58:59], v27, s[0:1]
	global_load_dwordx2 v[60:61], v5, s[0:1] offset:2048
	v_lshl_or_b32 v26, v26, 3, v24
	v_lshlrev_b32_sdwa v5, v16, v12 dst_sel:DWORD dst_unused:UNUSED_PAD src0_sel:DWORD src1_sel:BYTE_0
	v_lshlrev_b32_sdwa v27, v16, v12 dst_sel:DWORD dst_unused:UNUSED_PAD src0_sel:DWORD src1_sel:BYTE_1
	global_load_dwordx2 v[62:63], v26, s[0:1]
	global_load_dwordx2 v[64:65], v27, s[0:1] offset:2048
	global_load_dwordx2 v[66:67], v5, s[0:1]
	v_lshlrev_b32_sdwa v26, v16, v10 dst_sel:DWORD dst_unused:UNUSED_PAD src0_sel:DWORD src1_sel:BYTE_1
	v_lshlrev_b32_sdwa v5, v16, v10 dst_sel:DWORD dst_unused:UNUSED_PAD src0_sel:DWORD src1_sel:BYTE_0
	global_load_dwordx2 v[68:69], v26, s[0:1] offset:2048
	global_load_dwordx2 v[70:71], v5, s[0:1]
	v_bfe_u32 v5, v10, 16, 8
	v_lshl_or_b32 v5, v5, 3, v24
	v_bfe_u32 v10, v12, 16, 8
	v_cmp_gt_u32_e32 vcc, s2, v0
	s_movk_i32 s2, 0xb4
	s_waitcnt vmcnt(20)
	v_mul_f32_e32 v26, v2, v7
	v_mul_f32_e32 v12, v3, v7
	v_fmac_f32_e32 v26, v3, v6
	v_fma_f32 v12, v2, v6, -v12
	global_load_dwordx2 v[2:3], v5, s[0:1]
	v_lshl_or_b32 v5, v10, 3, v24
	global_load_dwordx2 v[6:7], v5, s[0:1]
	s_waitcnt vmcnt(20)
	v_mul_f32_e32 v5, v8, v18
	s_waitcnt vmcnt(18)
	v_mul_f32_e32 v10, v26, v23
	v_fma_f32 v27, v22, v12, -v10
	v_fma_f32 v5, -v9, v19, v5
	v_pk_mul_f32 v[8:9], v[8:9], v[18:19] op_sel:[1,0] op_sel_hi:[0,1]
	v_mul_f32_e32 v37, v12, v23
	s_waitcnt vmcnt(16)
	v_mul_f32_e32 v10, v33, v31
	v_fma_f32 v18, v32, v30, -v10
	v_subrev_u32_e32 v10, 60, v47
	v_cndmask_b32_e32 v45, v10, v47, vcc
	v_add_u32_e32 v10, 0xb4, v45
	v_mul_lo_u32 v10, v36, v10
	v_mul_f32_e32 v19, v32, v31
	v_lshlrev_b32_sdwa v12, v16, v10 dst_sel:DWORD dst_unused:UNUSED_PAD src0_sel:DWORD src1_sel:BYTE_0
	v_fmac_f32_e32 v37, v22, v26
	v_fmac_f32_e32 v19, v33, v30
	v_lshlrev_b32_sdwa v26, v16, v10 dst_sel:DWORD dst_unused:UNUSED_PAD src0_sel:DWORD src1_sel:BYTE_1
	global_load_dwordx2 v[22:23], v12, s[0:1]
	global_load_dwordx2 v[30:31], v26, s[0:1] offset:2048
	v_bfe_u32 v10, v10, 16, 8
	v_lshl_or_b32 v26, v10, 3, v24
	v_add_f32_e32 v8, v8, v9
	v_mul_f32_e32 v10, v5, v21
	v_add_u32_e32 v9, 0x78, v45
	v_fmac_f32_e32 v10, v20, v8
	v_mul_f32_e32 v8, v8, v21
	v_mul_lo_u32 v29, v36, v9
	v_fma_f32 v12, v20, v5, -v8
	s_waitcnt vmcnt(16)
	v_mul_f32_e32 v5, v39, v43
	v_bfe_u32 v9, v29, 16, 8
	v_fma_f32 v5, v38, v42, -v5
	v_mul_f32_e32 v8, v38, v43
	v_lshl_or_b32 v9, v9, 3, v24
	v_fmac_f32_e32 v8, v39, v42
	global_load_dwordx2 v[20:21], v9, s[0:1]
	global_load_dwordx2 v[32:33], v26, s[0:1]
	s_waitcnt vmcnt(16)
	v_mul_f32_e32 v9, v19, v51
	v_mul_f32_e32 v40, v5, v49
	v_fma_f32 v39, v50, v18, -v9
	v_mul_f32_e32 v9, v8, v49
	v_fmac_f32_e32 v40, v48, v8
	v_mul_i32_i24_e32 v8, 3, v14
	s_waitcnt vmcnt(13)
	v_mul_f32_e32 v14, v54, v57
	v_fma_f32 v38, v48, v5, -v9
	v_mul_f32_e32 v5, v55, v57
	v_fmac_f32_e32 v14, v55, v56
	v_mul_f32_e32 v42, v18, v51
	v_fma_f32 v5, v54, v56, -v5
	v_mul_f32_e32 v18, v14, v53
	v_fmac_f32_e32 v42, v50, v19
	v_fma_f32 v43, v52, v5, -v18
	s_waitcnt vmcnt(11)
	v_pk_mul_f32 v[18:19], v[58:59], v[60:61] op_sel:[1,0] op_sel_hi:[0,1]
	v_add_f32_e32 v18, v18, v19
	s_waitcnt vmcnt(8)
	v_mul_f32_e32 v19, v67, v65
	v_fma_f32 v26, v66, v64, -v19
	s_waitcnt vmcnt(6)
	v_mul_f32_e32 v19, v71, v69
	v_mul_f32_e32 v44, v5, v53
	v_fma_f32 v72, v70, v68, -v19
	v_lshlrev_b32_sdwa v19, v16, v29 dst_sel:DWORD dst_unused:UNUSED_PAD src0_sel:DWORD src1_sel:BYTE_0
	v_fmac_f32_e32 v44, v52, v14
	v_lshlrev_b32_sdwa v29, v16, v29 dst_sel:DWORD dst_unused:UNUSED_PAD src0_sel:DWORD src1_sel:BYTE_1
	v_add_u32_e32 v47, 60, v45
	global_load_dwordx2 v[50:51], v19, s[0:1]
	global_load_dwordx2 v[52:53], v29, s[0:1] offset:2048
	v_mul_lo_u32 v19, v36, v47
	v_bfe_u32 v29, v19, 16, 8
	v_mul_f32_e32 v5, v58, v60
	v_lshl_or_b32 v29, v29, 3, v24
	v_lshlrev_b32_sdwa v47, v16, v19 dst_sel:DWORD dst_unused:UNUSED_PAD src0_sel:DWORD src1_sel:BYTE_0
	v_lshlrev_b32_sdwa v19, v16, v19 dst_sel:DWORD dst_unused:UNUSED_PAD src0_sel:DWORD src1_sel:BYTE_1
	v_fma_f32 v5, -v59, v61, v5
	global_load_dwordx2 v[54:55], v29, s[0:1]
	global_load_dwordx2 v[56:57], v47, s[0:1]
	global_load_dwordx2 v[58:59], v19, s[0:1] offset:2048
	v_mul_lo_u32 v19, v36, v45
	v_bfe_u32 v29, v19, 16, 8
	v_mul_f32_e32 v48, v66, v65
	v_lshl_or_b32 v24, v29, 3, v24
	v_fmac_f32_e32 v48, v67, v64
	v_lshlrev_b32_sdwa v29, v16, v19 dst_sel:DWORD dst_unused:UNUSED_PAD src0_sel:DWORD src1_sel:BYTE_0
	v_lshlrev_b32_sdwa v16, v16, v19 dst_sel:DWORD dst_unused:UNUSED_PAD src0_sel:DWORD src1_sel:BYTE_1
	global_load_dwordx2 v[60:61], v24, s[0:1]
	global_load_dwordx2 v[64:65], v29, s[0:1]
	global_load_dwordx2 v[66:67], v16, s[0:1] offset:2048
	v_mov_b32_e32 v9, 0
	v_mul_f32_e32 v14, v18, v63
	v_mul_f32_e32 v16, v5, v63
	v_fma_f32 v14, v62, v5, -v14
	v_fmac_f32_e32 v16, v62, v18
	v_lshl_add_u64 v[18:19], v[8:9], 3, s[12:13]
	s_waitcnt vmcnt(12)
	v_mul_f32_e32 v5, v48, v7
	v_mul_f32_e32 v47, v26, v7
	v_mul_i32_i24_e32 v8, 3, v45
	v_fma_f32 v36, v6, v26, -v5
	v_fmac_f32_e32 v47, v6, v48
	v_lshl_add_u64 v[48:49], v[8:9], 3, s[12:13]
	v_mul_f32_e32 v69, v70, v69
	v_fmac_f32_e32 v69, v71, v68
	v_mul_f32_e32 v26, v69, v3
	s_waitcnt vmcnt(10)
	v_mul_f32_e32 v5, v23, v31
	v_mul_f32_e32 v24, v22, v31
	v_fma_f32 v5, v22, v30, -v5
	v_fmac_f32_e32 v24, v23, v30
	global_load_dwordx4 v[6:9], v[48:49], off offset:448
	global_load_dwordx2 v[22:23], v[48:49], off offset:464
	v_mul_f32_e32 v49, v72, v3
	v_fmac_f32_e32 v49, v2, v69
	v_fma_f32 v48, v2, v72, -v26
	s_waitcnt vmcnt(10)
	v_mul_f32_e32 v69, v5, v33
	v_mul_f32_e32 v2, v24, v33
	v_fmac_f32_e32 v69, v32, v24
	v_fma_f32 v68, v32, v5, -v2
	ds_read2_b64 v[2:5], v4 offset1:240
	s_waitcnt vmcnt(8)
	v_pk_mul_f32 v[30:31], v[50:51], v[52:53] op_sel:[1,0] op_sel_hi:[0,1]
	v_mul_f32_e32 v24, v50, v52
	v_add_f32_e32 v29, v30, v31
	v_fma_f32 v26, -v51, v53, v24
	v_mul_f32_e32 v24, v29, v21
	v_fma_f32 v24, v20, v26, -v24
	v_mul_f32_e32 v26, v26, v21
	v_fmac_f32_e32 v26, v20, v29
	ds_read_b64 v[30:31], v28
	s_waitcnt vmcnt(5)
	v_mul_f32_e32 v20, v57, v59
	v_mul_f32_e32 v21, v56, v59
	v_fma_f32 v20, v56, v58, -v20
	v_fmac_f32_e32 v21, v57, v58
	ds_read_b64 v[58:59], v11
	v_mul_f32_e32 v29, v21, v55
	v_mul_f32_e32 v57, v20, v55
	v_fma_f32 v56, v54, v20, -v29
	v_fmac_f32_e32 v57, v54, v21
	s_waitcnt vmcnt(2)
	v_mul_f32_e32 v20, v65, v67
	v_mul_f32_e32 v21, v64, v67
	v_fma_f32 v20, v64, v66, -v20
	v_fmac_f32_e32 v21, v65, v66
	v_mul_f32_e32 v29, v21, v61
	v_mul_f32_e32 v67, v20, v61
	v_fma_f32 v66, v60, v20, -v29
	v_fmac_f32_e32 v67, v60, v21
	v_mad_u64_u32 v[20:21], s[0:1], s10, v34, 0
	v_mov_b32_e32 v32, v21
	v_mad_u64_u32 v[28:29], s[0:1], s11, v34, v[32:33]
	v_mov_b32_e32 v21, v28
	s_movk_i32 s0, 0x2cf
	v_cmp_lt_u32_e32 vcc, s0, v0
	s_waitcnt vmcnt(1) lgkmcnt(1)
	v_pk_mul_f32 v[50:51], v[6:7], v[30:31] op_sel:[0,1]
	s_nop 0
	v_pk_fma_f32 v[52:53], v[6:7], v[30:31], v[50:51] op_sel:[0,0,1] op_sel_hi:[1,1,0]
	v_pk_fma_f32 v[50:51], v[6:7], v[30:31], v[50:51] op_sel:[0,0,1] op_sel_hi:[1,0,0] neg_lo:[1,0,0] neg_hi:[1,0,0]
	ds_read2_b64 v[28:31], v17 offset1:240
	v_pk_mul_f32 v[32:33], v[8:9], v[4:5] op_sel:[0,1]
	v_mov_b32_e32 v53, v51
	v_pk_fma_f32 v[54:55], v[8:9], v[4:5], v[32:33] op_sel:[0,0,1] op_sel_hi:[1,1,0]
	v_pk_fma_f32 v[8:9], v[8:9], v[4:5], v[32:33] op_sel:[0,0,1] op_sel_hi:[1,0,0] neg_lo:[1,0,0] neg_hi:[1,0,0]
	ds_read2st64_b64 v[4:7], v41 offset1:15
	s_waitcnt vmcnt(0) lgkmcnt(1)
	v_pk_mul_f32 v[32:33], v[22:23], v[28:29] op_sel:[0,1]
	v_mov_b32_e32 v8, 0xf0
	v_pk_fma_f32 v[50:51], v[22:23], v[28:29], v[32:33] op_sel:[0,0,1] op_sel_hi:[1,1,0]
	v_pk_fma_f32 v[22:23], v[22:23], v[28:29], v[32:33] op_sel:[0,0,1] op_sel_hi:[1,0,0] neg_lo:[1,0,0] neg_hi:[1,0,0]
	v_cndmask_b32_e32 v8, 0, v8, vcc
	v_mov_b32_e32 v55, v9
	v_mov_b32_e32 v51, v23
	v_add_u32_e32 v34, v45, v8
	s_waitcnt lgkmcnt(0)
	v_pk_add_f32 v[8:9], v[4:5], v[54:55] neg_lo:[0,1] neg_hi:[0,1]
	v_pk_add_f32 v[22:23], v[52:53], v[50:51] neg_lo:[0,1] neg_hi:[0,1]
	v_pk_fma_f32 v[4:5], v[4:5], 2.0, v[8:9] op_sel_hi:[1,0,1] neg_lo:[0,0,1] neg_hi:[0,0,1]
	v_pk_fma_f32 v[28:29], v[52:53], 2.0, v[22:23] op_sel_hi:[1,0,1] neg_lo:[0,0,1] neg_hi:[0,0,1]
	v_sub_f32_e32 v22, v9, v22
	v_pk_add_f32 v[28:29], v[4:5], v[28:29] neg_lo:[0,1] neg_hi:[0,1]
	v_mul_f32_e32 v64, v22, v69
	v_pk_mul_f32 v[32:33], v[28:29], v[26:27] op_sel_hi:[1,0]
	v_fma_f32 v17, v5, 2.0, -v29
	v_fma_f32 v26, v4, 2.0, -v28
	v_mad_u64_u32 v[4:5], s[0:1], s4, v34, 0
	v_pk_fma_f32 v[60:61], v[28:29], v[24:25], v[32:33] op_sel:[0,0,1] op_sel_hi:[1,1,0]
	v_pk_fma_f32 v[32:33], v[28:29], v[24:25], v[32:33] op_sel:[0,0,1] op_sel_hi:[1,0,0] neg_lo:[0,0,1] neg_hi:[0,0,1]
	v_mov_b32_e32 v24, v5
	v_mad_u64_u32 v[28:29], s[0:1], s5, v34, v[24:25]
	v_add_u32_e32 v32, 60, v34
	v_mov_b32_e32 v5, v28
	v_mad_u64_u32 v[28:29], s[0:1], s4, v32, 0
	v_mov_b32_e32 v24, v29
	v_mad_u64_u32 v[50:51], s[0:1], s5, v32, v[24:25]
	v_add_u32_e32 v32, 0x78, v34
	v_mad_u64_u32 v[62:63], s[0:1], s4, v32, 0
	v_mov_b32_e32 v24, v63
	v_mov_b32_e32 v29, v50
	v_mad_u64_u32 v[50:51], s[0:1], s5, v32, v[24:25]
	v_add_f32_e32 v24, v8, v23
	v_mul_f32_e32 v23, v24, v69
	v_fma_f32 v32, v8, 2.0, -v24
	v_fma_f32 v65, v22, v68, -v23
	v_fma_f32 v22, v9, 2.0, -v22
	v_mul_f32_e32 v8, v32, v57
	s_lshl_b64 s[0:1], s[6:7], 3
	v_fma_f32 v9, v22, v56, -v8
	v_mul_f32_e32 v8, v22, v57
	v_mul_f32_e32 v22, v26, v67
	s_add_u32 s0, s8, s0
	v_fma_f32 v23, v17, v66, -v22
	v_mul_f32_e32 v22, v17, v67
	s_addc_u32 s1, s9, s1
	v_fmac_f32_e32 v22, v26, v66
	v_lshl_add_u64 v[66:67], v[20:21], 3, s[0:1]
	v_lshl_add_u64 v[4:5], v[4:5], 3, v[66:67]
	global_store_dwordx2 v[4:5], v[22:23], off
	global_load_dwordx4 v[20:23], v[18:19], off offset:448
	s_nop 0
	global_load_dwordx2 v[4:5], v[18:19], off offset:464
	v_mul_u32_u24_e32 v17, 3, v25
	v_lshl_add_u64 v[18:19], v[28:29], 3, v[66:67]
	v_fmac_f32_e32 v8, v32, v56
	v_lshlrev_b32_e32 v17, 3, v17
	global_store_dwordx2 v[18:19], v[8:9], off
	v_mov_b32_e32 v63, v50
	global_load_dwordx2 v[8:9], v17, s[12:13] offset:464
	global_load_dwordx4 v[50:53], v17, s[12:13] offset:448
	ds_read2_b64 v[54:57], v13 offset1:240
	v_lshl_add_u64 v[18:19], v[62:63], 3, v[66:67]
	v_mov_b32_e32 v61, v33
	v_add_u32_e32 v13, 0xb4, v34
	global_store_dwordx2 v[18:19], v[60:61], off
	v_mad_u64_u32 v[18:19], s[0:1], s4, v13, 0
	v_fmac_f32_e32 v64, v24, v68
	v_mov_b32_e32 v24, v19
	v_mad_u64_u32 v[24:25], s[0:1], s5, v13, v[24:25]
	s_movk_i32 s0, 0x1df
	v_mov_b32_e32 v13, 0xb4
	v_cmp_lt_u32_e32 vcc, s0, v0
	v_mov_b32_e32 v19, v24
	v_lshl_add_u64 v[18:19], v[18:19], 3, v[66:67]
	v_cndmask_b32_e32 v0, 0, v13, vcc
	v_add_u32_e32 v13, v1, v0
	v_mad_u64_u32 v[0:1], s[0:1], s4, v13, 0
	global_store_dwordx2 v[18:19], v[64:65], off
	v_mov_b32_e32 v18, v1
	v_mad_u64_u32 v[18:19], s[0:1], s5, v13, v[18:19]
	v_add_u32_e32 v17, 60, v13
	v_mov_b32_e32 v1, v18
	v_mad_u64_u32 v[18:19], s[0:1], s4, v17, 0
	v_mov_b32_e32 v24, v19
	v_mad_u64_u32 v[24:25], s[0:1], s5, v17, v[24:25]
	v_mov_b32_e32 v19, v24
	v_add_u32_e32 v17, 0x78, v13
	v_lshl_add_u64 v[0:1], v[0:1], 3, v[66:67]
	v_lshl_add_u64 v[18:19], v[18:19], 3, v[66:67]
	s_waitcnt vmcnt(6)
	v_pk_mul_f32 v[24:25], v[20:21], v[6:7] op_sel:[0,1]
	s_nop 0
	v_pk_fma_f32 v[28:29], v[20:21], v[6:7], v[24:25] op_sel:[0,0,1] op_sel_hi:[1,1,0]
	v_pk_fma_f32 v[6:7], v[20:21], v[6:7], v[24:25] op_sel:[0,0,1] op_sel_hi:[1,0,0] neg_lo:[1,0,0] neg_hi:[1,0,0]
	s_waitcnt lgkmcnt(0)
	v_pk_mul_f32 v[20:21], v[22:23], v[54:55] op_sel:[0,1]
	v_mov_b32_e32 v29, v7
	v_pk_fma_f32 v[24:25], v[22:23], v[54:55], v[20:21] op_sel:[0,0,1] op_sel_hi:[1,1,0]
	v_pk_fma_f32 v[20:21], v[22:23], v[54:55], v[20:21] op_sel:[0,0,1] op_sel_hi:[1,0,0] neg_lo:[1,0,0] neg_hi:[1,0,0]
	ds_read_b64 v[54:55], v46
	v_mad_u64_u32 v[22:23], s[0:1], s4, v17, 0
	v_mov_b32_e32 v6, v23
	v_mad_u64_u32 v[32:33], s[0:1], s5, v17, v[6:7]
	v_mov_b32_e32 v23, v32
	v_mov_b32_e32 v25, v21
	ds_read_b64 v[20:21], v11
	ds_read_b64 v[32:33], v46
	ds_read_b64 v[60:61], v41 offset:21120
	s_waitcnt vmcnt(5)
	v_pk_mul_f32 v[6:7], v[30:31], v[4:5] op_sel:[0,1]
	s_waitcnt lgkmcnt(3)
	v_pk_add_f32 v[24:25], v[54:55], v[24:25] neg_lo:[0,1] neg_hi:[0,1]
	v_pk_fma_f32 v[54:55], v[30:31], v[4:5], v[6:7] op_sel:[0,0,1] op_sel_hi:[1,1,0]
	v_pk_fma_f32 v[4:5], v[30:31], v[4:5], v[6:7] op_sel:[0,0,1] op_sel_hi:[1,0,0] neg_lo:[0,0,1] neg_hi:[0,0,1]
	s_waitcnt lgkmcnt(1)
	v_pk_fma_f32 v[30:31], v[32:33], 2.0, v[24:25] op_sel_hi:[1,0,1] neg_lo:[0,0,1] neg_hi:[0,0,1]
	v_mov_b32_e32 v55, v5
	v_pk_add_f32 v[4:5], v[28:29], v[54:55] neg_lo:[0,1] neg_hi:[0,1]
	v_lshl_add_u64 v[22:23], v[22:23], 3, v[66:67]
	v_sub_f32_e32 v11, v25, v4
	v_add_f32_e32 v26, v24, v5
	v_pk_fma_f32 v[4:5], v[28:29], 2.0, v[4:5] op_sel_hi:[1,0,1] neg_lo:[0,0,1] neg_hi:[0,0,1]
	v_mul_f32_e32 v6, v26, v44
	v_pk_add_f32 v[4:5], v[30:31], v[4:5] neg_lo:[0,1] neg_hi:[0,1]
	v_fma_f32 v7, v11, v43, -v6
	v_mul_f32_e32 v6, v11, v44
	v_pk_mul_f32 v[16:17], v[4:5], v[16:17] op_sel_hi:[1,0]
	v_fma_f32 v11, v25, 2.0, -v11
	v_pk_fma_f32 v[28:29], v[4:5], v[14:15], v[16:17] op_sel:[0,0,1] op_sel_hi:[1,1,0]
	v_pk_fma_f32 v[16:17], v[4:5], v[14:15], v[16:17] op_sel:[0,0,1] op_sel_hi:[1,0,0] neg_lo:[0,0,1] neg_hi:[0,0,1]
	v_fma_f32 v14, v24, 2.0, -v26
	v_mul_f32_e32 v24, v11, v47
	v_mul_f32_e32 v16, v14, v47
	v_fmac_f32_e32 v24, v14, v36
	v_fma_f32 v14, v30, 2.0, -v4
	v_fma_f32 v25, v11, v36, -v16
	v_fma_f32 v11, v31, 2.0, -v5
	v_mul_f32_e32 v4, v14, v49
	v_fma_f32 v5, v11, v48, -v4
	v_mul_f32_e32 v4, v11, v49
	v_fmac_f32_e32 v4, v14, v48
	global_store_dwordx2 v[0:1], v[4:5], off
	global_store_dwordx2 v[18:19], v[24:25], off
	v_add_u32_e32 v5, 0xb4, v13
	v_mad_u64_u32 v[0:1], s[0:1], s4, v5, 0
	v_mov_b32_e32 v4, v1
	v_mad_u64_u32 v[4:5], s[0:1], s5, v5, v[4:5]
	v_mov_b32_e32 v29, v17
	v_mov_b32_e32 v1, v4
	v_fmac_f32_e32 v6, v26, v43
	global_store_dwordx2 v[22:23], v[28:29], off
	v_lshl_add_u64 v[0:1], v[0:1], 3, v[66:67]
	v_mad_u32_u24 v22, v15, s2, v35
	global_store_dwordx2 v[0:1], v[6:7], off
	v_mad_u64_u32 v[0:1], s[0:1], s4, v22, 0
	v_mov_b32_e32 v4, v1
	v_mad_u64_u32 v[4:5], s[0:1], s5, v22, v[4:5]
	v_add_u32_e32 v7, 60, v22
	v_mov_b32_e32 v1, v4
	v_mad_u64_u32 v[4:5], s[0:1], s4, v7, 0
	v_mov_b32_e32 v6, v5
	v_mad_u64_u32 v[6:7], s[0:1], s5, v7, v[6:7]
	v_add_u32_e32 v11, 0x78, v22
	v_mov_b32_e32 v5, v6
	v_mad_u64_u32 v[6:7], s[0:1], s4, v11, 0
	v_mov_b32_e32 v14, v7
	v_mad_u64_u32 v[14:15], s[0:1], s5, v11, v[14:15]
	v_mov_b32_e32 v7, v14
	s_waitcnt vmcnt(6)
	v_mov_b32_e32 v14, v53
	v_pk_mul_f32 v[14:15], v[56:57], v[14:15] op_sel_hi:[1,0]
	v_lshl_add_u64 v[0:1], v[0:1], 3, v[66:67]
	v_pk_fma_f32 v[16:17], v[56:57], v[52:53], v[14:15] op_sel:[0,0,1] op_sel_hi:[1,1,0]
	v_pk_fma_f32 v[14:15], v[56:57], v[52:53], v[14:15] op_sel:[0,0,1] op_sel_hi:[1,0,0] neg_lo:[0,0,1] neg_hi:[0,0,1]
	v_lshl_add_u64 v[4:5], v[4:5], 3, v[66:67]
	v_mov_b32_e32 v17, v15
	v_pk_add_f32 v[14:15], v[58:59], v[16:17] neg_lo:[0,1] neg_hi:[0,1]
	v_pk_mul_f32 v[16:17], v[2:3], v[50:51] op_sel:[0,1]
	v_lshl_add_u64 v[6:7], v[6:7], 3, v[66:67]
	v_pk_fma_f32 v[18:19], v[2:3], v[50:51], v[16:17] op_sel:[0,0,1] op_sel_hi:[1,1,0]
	v_pk_fma_f32 v[2:3], v[2:3], v[50:51], v[16:17] op_sel:[0,0,1] op_sel_hi:[1,0,0] neg_lo:[0,0,1] neg_hi:[0,0,1]
	s_nop 0
	v_mov_b32_e32 v19, v3
	s_waitcnt lgkmcnt(0)
	v_pk_mul_f32 v[2:3], v[60:61], v[8:9] op_sel:[0,1]
	s_nop 0
	v_pk_fma_f32 v[16:17], v[60:61], v[8:9], v[2:3] op_sel:[0,0,1] op_sel_hi:[1,1,0]
	v_pk_fma_f32 v[2:3], v[60:61], v[8:9], v[2:3] op_sel:[0,0,1] op_sel_hi:[1,0,0] neg_lo:[0,0,1] neg_hi:[0,0,1]
	s_nop 0
	v_mov_b32_e32 v17, v3
	v_pk_add_f32 v[2:3], v[18:19], v[16:17] neg_lo:[0,1] neg_hi:[0,1]
	v_pk_fma_f32 v[16:17], v[20:21], 2.0, v[14:15] op_sel_hi:[1,0,1] neg_lo:[0,0,1] neg_hi:[0,0,1]
	v_sub_f32_e32 v13, v15, v2
	v_add_f32_e32 v23, v14, v3
	v_pk_fma_f32 v[2:3], v[18:19], 2.0, v[2:3] op_sel_hi:[1,0,1] neg_lo:[0,0,1] neg_hi:[0,0,1]
	v_fma_f32 v14, v14, 2.0, -v23
	v_pk_add_f32 v[2:3], v[16:17], v[2:3] neg_lo:[0,1] neg_hi:[0,1]
	v_mul_f32_e32 v8, v23, v37
	v_pk_mul_f32 v[10:11], v[2:3], v[10:11] op_sel_hi:[1,0]
	v_fma_f32 v9, v13, v27, -v8
	v_pk_fma_f32 v[18:19], v[2:3], v[12:13], v[10:11] op_sel:[0,0,1] op_sel_hi:[1,1,0]
	v_pk_fma_f32 v[10:11], v[2:3], v[12:13], v[10:11] op_sel:[0,0,1] op_sel_hi:[1,0,0] neg_lo:[0,0,1] neg_hi:[0,0,1]
	v_mul_f32_e32 v12, v14, v42
	v_fma_f32 v10, v15, 2.0, -v13
	v_mul_f32_e32 v8, v13, v37
	v_fma_f32 v13, v10, v39, -v12
	v_mul_f32_e32 v12, v10, v42
	v_fmac_f32_e32 v12, v14, v39
	v_fma_f32 v14, v16, 2.0, -v2
	v_fma_f32 v10, v17, 2.0, -v3
	v_mul_f32_e32 v2, v14, v40
	v_fma_f32 v3, v10, v38, -v2
	v_mul_f32_e32 v2, v10, v40
	v_fmac_f32_e32 v2, v14, v38
	global_store_dwordx2 v[0:1], v[2:3], off
	global_store_dwordx2 v[4:5], v[12:13], off
	v_add_u32_e32 v3, 0xb4, v22
	v_mad_u64_u32 v[0:1], s[0:1], s4, v3, 0
	v_mov_b32_e32 v2, v1
	v_mad_u64_u32 v[2:3], s[0:1], s5, v3, v[2:3]
	v_mov_b32_e32 v1, v2
	v_fmac_f32_e32 v8, v23, v27
	v_mov_b32_e32 v19, v11
	v_lshl_add_u64 v[0:1], v[0:1], 3, v[66:67]
	global_store_dwordx2 v[6:7], v[18:19], off
	global_store_dwordx2 v[0:1], v[8:9], off
.LBB0_20:
	s_endpgm
	.section	.rodata,"a",@progbits
	.p2align	6, 0x0
	.amdhsa_kernel fft_rtc_back_len240_factors_4_5_3_4_wgs_240_tpt_20_dim3_sp_ip_CI_sbcc_twdbase8_3step_dirReg
		.amdhsa_group_segment_fixed_size 0
		.amdhsa_private_segment_fixed_size 0
		.amdhsa_kernarg_size 88
		.amdhsa_user_sgpr_count 2
		.amdhsa_user_sgpr_dispatch_ptr 0
		.amdhsa_user_sgpr_queue_ptr 0
		.amdhsa_user_sgpr_kernarg_segment_ptr 1
		.amdhsa_user_sgpr_dispatch_id 0
		.amdhsa_user_sgpr_kernarg_preload_length 0
		.amdhsa_user_sgpr_kernarg_preload_offset 0
		.amdhsa_user_sgpr_private_segment_size 0
		.amdhsa_uses_dynamic_stack 0
		.amdhsa_enable_private_segment 0
		.amdhsa_system_sgpr_workgroup_id_x 1
		.amdhsa_system_sgpr_workgroup_id_y 0
		.amdhsa_system_sgpr_workgroup_id_z 0
		.amdhsa_system_sgpr_workgroup_info 0
		.amdhsa_system_vgpr_workitem_id 0
		.amdhsa_next_free_vgpr 73
		.amdhsa_next_free_sgpr 26
		.amdhsa_accum_offset 76
		.amdhsa_reserve_vcc 1
		.amdhsa_float_round_mode_32 0
		.amdhsa_float_round_mode_16_64 0
		.amdhsa_float_denorm_mode_32 3
		.amdhsa_float_denorm_mode_16_64 3
		.amdhsa_dx10_clamp 1
		.amdhsa_ieee_mode 1
		.amdhsa_fp16_overflow 0
		.amdhsa_tg_split 0
		.amdhsa_exception_fp_ieee_invalid_op 0
		.amdhsa_exception_fp_denorm_src 0
		.amdhsa_exception_fp_ieee_div_zero 0
		.amdhsa_exception_fp_ieee_overflow 0
		.amdhsa_exception_fp_ieee_underflow 0
		.amdhsa_exception_fp_ieee_inexact 0
		.amdhsa_exception_int_div_zero 0
	.end_amdhsa_kernel
	.text
.Lfunc_end0:
	.size	fft_rtc_back_len240_factors_4_5_3_4_wgs_240_tpt_20_dim3_sp_ip_CI_sbcc_twdbase8_3step_dirReg, .Lfunc_end0-fft_rtc_back_len240_factors_4_5_3_4_wgs_240_tpt_20_dim3_sp_ip_CI_sbcc_twdbase8_3step_dirReg
                                        ; -- End function
	.section	.AMDGPU.csdata,"",@progbits
; Kernel info:
; codeLenInByte = 8236
; NumSgprs: 32
; NumVgprs: 73
; NumAgprs: 0
; TotalNumVgprs: 73
; ScratchSize: 0
; MemoryBound: 0
; FloatMode: 240
; IeeeMode: 1
; LDSByteSize: 0 bytes/workgroup (compile time only)
; SGPRBlocks: 3
; VGPRBlocks: 9
; NumSGPRsForWavesPerEU: 32
; NumVGPRsForWavesPerEU: 73
; AccumOffset: 76
; Occupancy: 6
; WaveLimiterHint : 1
; COMPUTE_PGM_RSRC2:SCRATCH_EN: 0
; COMPUTE_PGM_RSRC2:USER_SGPR: 2
; COMPUTE_PGM_RSRC2:TRAP_HANDLER: 0
; COMPUTE_PGM_RSRC2:TGID_X_EN: 1
; COMPUTE_PGM_RSRC2:TGID_Y_EN: 0
; COMPUTE_PGM_RSRC2:TGID_Z_EN: 0
; COMPUTE_PGM_RSRC2:TIDIG_COMP_CNT: 0
; COMPUTE_PGM_RSRC3_GFX90A:ACCUM_OFFSET: 18
; COMPUTE_PGM_RSRC3_GFX90A:TG_SPLIT: 0
	.text
	.p2alignl 6, 3212836864
	.fill 256, 4, 3212836864
	.type	__hip_cuid_df63dd255e575f56,@object ; @__hip_cuid_df63dd255e575f56
	.section	.bss,"aw",@nobits
	.globl	__hip_cuid_df63dd255e575f56
__hip_cuid_df63dd255e575f56:
	.byte	0                               ; 0x0
	.size	__hip_cuid_df63dd255e575f56, 1

	.ident	"AMD clang version 19.0.0git (https://github.com/RadeonOpenCompute/llvm-project roc-6.4.0 25133 c7fe45cf4b819c5991fe208aaa96edf142730f1d)"
	.section	".note.GNU-stack","",@progbits
	.addrsig
	.addrsig_sym __hip_cuid_df63dd255e575f56
	.amdgpu_metadata
---
amdhsa.kernels:
  - .agpr_count:     0
    .args:
      - .actual_access:  read_only
        .address_space:  global
        .offset:         0
        .size:           8
        .value_kind:     global_buffer
      - .address_space:  global
        .offset:         8
        .size:           8
        .value_kind:     global_buffer
      - .actual_access:  read_only
        .address_space:  global
        .offset:         16
        .size:           8
        .value_kind:     global_buffer
      - .actual_access:  read_only
        .address_space:  global
        .offset:         24
        .size:           8
        .value_kind:     global_buffer
      - .offset:         32
        .size:           8
        .value_kind:     by_value
      - .actual_access:  read_only
        .address_space:  global
        .offset:         40
        .size:           8
        .value_kind:     global_buffer
      - .actual_access:  read_only
        .address_space:  global
        .offset:         48
        .size:           8
        .value_kind:     global_buffer
      - .offset:         56
        .size:           4
        .value_kind:     by_value
      - .actual_access:  read_only
        .address_space:  global
        .offset:         64
        .size:           8
        .value_kind:     global_buffer
      - .actual_access:  read_only
        .address_space:  global
        .offset:         72
        .size:           8
        .value_kind:     global_buffer
      - .address_space:  global
        .offset:         80
        .size:           8
        .value_kind:     global_buffer
    .group_segment_fixed_size: 0
    .kernarg_segment_align: 8
    .kernarg_segment_size: 88
    .language:       OpenCL C
    .language_version:
      - 2
      - 0
    .max_flat_workgroup_size: 240
    .name:           fft_rtc_back_len240_factors_4_5_3_4_wgs_240_tpt_20_dim3_sp_ip_CI_sbcc_twdbase8_3step_dirReg
    .private_segment_fixed_size: 0
    .sgpr_count:     32
    .sgpr_spill_count: 0
    .symbol:         fft_rtc_back_len240_factors_4_5_3_4_wgs_240_tpt_20_dim3_sp_ip_CI_sbcc_twdbase8_3step_dirReg.kd
    .uniform_work_group_size: 1
    .uses_dynamic_stack: false
    .vgpr_count:     73
    .vgpr_spill_count: 0
    .wavefront_size: 64
amdhsa.target:   amdgcn-amd-amdhsa--gfx950
amdhsa.version:
  - 1
  - 2
...

	.end_amdgpu_metadata
